;; amdgpu-corpus repo=ROCm/rocFFT kind=compiled arch=gfx1201 opt=O3
	.text
	.amdgcn_target "amdgcn-amd-amdhsa--gfx1201"
	.amdhsa_code_object_version 6
	.protected	bluestein_single_back_len68_dim1_half_op_CI_CI ; -- Begin function bluestein_single_back_len68_dim1_half_op_CI_CI
	.globl	bluestein_single_back_len68_dim1_half_op_CI_CI
	.p2align	8
	.type	bluestein_single_back_len68_dim1_half_op_CI_CI,@function
bluestein_single_back_len68_dim1_half_op_CI_CI: ; @bluestein_single_back_len68_dim1_half_op_CI_CI
; %bb.0:
	s_load_b128 s[8:11], s[0:1], 0x28
	v_mul_u32_u24_e32 v1, 0xf10, v0
	s_mov_b32 s2, exec_lo
	s_delay_alu instid0(VALU_DEP_1) | instskip(NEXT) | instid1(VALU_DEP_1)
	v_lshrrev_b32_e32 v1, 16, v1
	v_mad_co_u64_u32 v[3:4], null, ttmp9, 15, v[1:2]
	v_mov_b32_e32 v4, 0
	s_wait_kmcnt 0x0
	s_delay_alu instid0(VALU_DEP_1)
	v_cmpx_gt_u64_e64 s[8:9], v[3:4]
	s_cbranch_execz .LBB0_15
; %bb.1:
	v_mul_hi_u32 v2, 0x88888889, v3
	v_mul_lo_u16 v1, v1, 17
	s_clause 0x1
	s_load_b64 s[8:9], s[0:1], 0x0
	s_load_b64 s[12:13], s[0:1], 0x38
	s_delay_alu instid0(VALU_DEP_1) | instskip(NEXT) | instid1(VALU_DEP_3)
	v_sub_nc_u16 v0, v0, v1
	v_lshrrev_b32_e32 v1, 3, v2
	s_delay_alu instid0(VALU_DEP_2) | instskip(SKIP_1) | instid1(VALU_DEP_3)
	v_and_b32_e32 v47, 0xffff, v0
	v_cmp_gt_u16_e32 vcc_lo, 4, v0
	v_mul_lo_u32 v1, v1, 15
	s_delay_alu instid0(VALU_DEP_3)
	v_lshlrev_b32_e32 v31, 2, v47
	v_or_b32_e32 v46, 4, v47
	v_or_b32_e32 v45, 8, v47
	;; [unrolled: 1-line block ×4, first 2 shown]
	v_sub_nc_u32_e32 v0, v3, v1
	v_or_b32_e32 v42, 20, v47
	v_or_b32_e32 v41, 24, v47
	;; [unrolled: 1-line block ×4, first 2 shown]
	v_mul_u32_u24_e32 v27, 0x44, v0
	v_or_b32_e32 v38, 36, v47
	v_or_b32_e32 v37, 40, v47
	;; [unrolled: 1-line block ×9, first 2 shown]
	v_lshlrev_b32_e32 v48, 2, v0
	s_and_saveexec_b32 s3, vcc_lo
	s_cbranch_execz .LBB0_3
; %bb.2:
	s_load_b64 s[4:5], s[0:1], 0x18
	s_wait_kmcnt 0x0
	s_load_b128 s[4:7], s[4:5], 0x0
	s_wait_kmcnt 0x0
	v_mad_co_u64_u32 v[4:5], null, s4, v47, 0
	v_mad_co_u64_u32 v[0:1], null, s6, v3, 0
	;; [unrolled: 1-line block ×9, first 2 shown]
	v_dual_mov_b32 v2, v5 :: v_dual_mov_b32 v5, v7
	v_mov_b32_e32 v7, v9
	v_mov_b32_e32 v9, v11
	;; [unrolled: 1-line block ×6, first 2 shown]
	v_mad_co_u64_u32 v[19:20], null, s7, v3, v[1:2]
	v_mad_co_u64_u32 v[20:21], null, s5, v47, v[2:3]
	;; [unrolled: 1-line block ×4, first 2 shown]
	s_delay_alu instid0(VALU_DEP_4) | instskip(SKIP_3) | instid1(VALU_DEP_4)
	v_mov_b32_e32 v1, v19
	v_mad_co_u64_u32 v[23:24], null, s5, v44, v[9:10]
	v_mov_b32_e32 v5, v20
	v_mov_b32_e32 v7, v21
	v_lshlrev_b64_e32 v[0:1], 2, v[0:1]
	v_mad_co_u64_u32 v[24:25], null, s5, v43, v[11:12]
	v_mad_co_u64_u32 v[25:26], null, s5, v42, v[13:14]
	v_lshlrev_b64_e32 v[4:5], 2, v[4:5]
	v_mov_b32_e32 v9, v22
	v_add_co_u32 v26, s2, s10, v0
	v_mad_co_u64_u32 v[28:29], null, s5, v41, v[15:16]
	v_lshlrev_b64_e32 v[6:7], 2, v[6:7]
	v_add_co_ci_u32_e64 v29, s2, s11, v1, s2
	v_mov_b32_e32 v11, v23
	v_lshlrev_b64_e32 v[8:9], 2, v[8:9]
	v_add_co_u32 v4, s2, v26, v4
	v_mov_b32_e32 v13, v24
	v_mov_b32_e32 v15, v25
	s_wait_alu 0xf1ff
	v_add_co_ci_u32_e64 v5, s2, v29, v5, s2
	v_lshlrev_b64_e32 v[10:11], 2, v[10:11]
	v_add_co_u32 v6, s2, v26, v6
	s_wait_alu 0xf1ff
	v_add_co_ci_u32_e64 v7, s2, v29, v7, s2
	v_lshlrev_b64_e32 v[0:1], 2, v[12:13]
	v_add_co_u32 v8, s2, v26, v8
	v_lshlrev_b64_e32 v[12:13], 2, v[14:15]
	v_mad_co_u64_u32 v[14:15], null, s5, v40, v[17:18]
	v_mad_co_u64_u32 v[20:21], null, s4, v39, 0
	v_mov_b32_e32 v17, v28
	s_wait_alu 0xf1ff
	v_add_co_ci_u32_e64 v9, s2, v29, v9, s2
	v_add_co_u32 v10, s2, v26, v10
	s_wait_alu 0xf1ff
	v_add_co_ci_u32_e64 v11, s2, v29, v11, s2
	v_add_co_u32 v0, s2, v26, v0
	v_lshlrev_b64_e32 v[15:16], 2, v[16:17]
	s_wait_alu 0xf1ff
	v_add_co_ci_u32_e64 v1, s2, v29, v1, s2
	v_add_co_u32 v12, s2, v26, v12
	v_dual_mov_b32 v19, v14 :: v_dual_mov_b32 v2, v21
	v_mad_co_u64_u32 v[22:23], null, s4, v38, 0
	s_wait_alu 0xf1ff
	v_add_co_ci_u32_e64 v13, s2, v29, v13, s2
	v_add_co_u32 v14, s2, v26, v15
	s_wait_alu 0xf1ff
	v_add_co_ci_u32_e64 v15, s2, v29, v16, s2
	v_lshlrev_b64_e32 v[16:17], 2, v[18:19]
	v_mad_co_u64_u32 v[18:19], null, s5, v39, v[2:3]
	v_mad_co_u64_u32 v[24:25], null, s4, v37, 0
	v_mov_b32_e32 v2, v23
	s_delay_alu instid0(VALU_DEP_4)
	v_add_co_u32 v16, s2, v26, v16
	s_wait_alu 0xf1ff
	v_add_co_ci_u32_e64 v17, s2, v29, v17, s2
	v_mov_b32_e32 v21, v18
	v_mad_co_u64_u32 v[18:19], null, s5, v38, v[2:3]
	v_mov_b32_e32 v2, v25
	s_clause 0x7
	global_load_b32 v28, v[4:5], off
	global_load_b32 v49, v[6:7], off
	;; [unrolled: 1-line block ×8, first 2 shown]
	v_mad_co_u64_u32 v[12:13], null, s4, v35, 0
	v_mad_co_u64_u32 v[14:15], null, s4, v34, 0
	;; [unrolled: 1-line block ×4, first 2 shown]
	v_mov_b32_e32 v23, v18
	v_lshlrev_b64_e32 v[0:1], 2, v[20:21]
	s_clause 0x7
	global_load_b32 v56, v31, s[8:9]
	global_load_b32 v57, v31, s[8:9] offset:16
	global_load_b32 v58, v31, s[8:9] offset:32
	;; [unrolled: 1-line block ×7, first 2 shown]
	v_mov_b32_e32 v25, v4
	v_lshlrev_b64_e32 v[7:8], 2, v[22:23]
	v_mov_b32_e32 v2, v6
	v_add_co_u32 v0, s2, v26, v0
	v_mad_co_u64_u32 v[22:23], null, s4, v30, 0
	s_delay_alu instid0(VALU_DEP_3)
	v_mad_co_u64_u32 v[9:10], null, s5, v36, v[2:3]
	v_mov_b32_e32 v2, v13
	v_lshlrev_b64_e32 v[10:11], 2, v[24:25]
	s_wait_alu 0xf1ff
	v_add_co_ci_u32_e64 v1, s2, v29, v1, s2
	v_add_co_u32 v7, s2, v26, v7
	v_mad_co_u64_u32 v[16:17], null, s5, v35, v[2:3]
	v_mov_b32_e32 v2, v15
	v_mad_co_u64_u32 v[17:18], null, s4, v33, 0
	v_mov_b32_e32 v6, v9
	s_wait_alu 0xf1ff
	v_add_co_ci_u32_e64 v8, s2, v29, v8, s2
	v_mad_co_u64_u32 v[19:20], null, s5, v34, v[2:3]
	v_mad_co_u64_u32 v[20:21], null, s4, v32, 0
	v_dual_mov_b32 v2, v18 :: v_dual_mov_b32 v13, v16
	v_add_co_u32 v9, s2, v26, v10
	s_delay_alu instid0(VALU_DEP_4) | instskip(NEXT) | instid1(VALU_DEP_3)
	v_mov_b32_e32 v15, v19
	v_mad_co_u64_u32 v[18:19], null, s5, v33, v[2:3]
	v_mov_b32_e32 v2, v21
	s_wait_alu 0xf1ff
	v_add_co_ci_u32_e64 v10, s2, v29, v11, s2
	v_lshlrev_b64_e32 v[11:12], 2, v[12:13]
	v_lshlrev_b64_e32 v[13:14], 2, v[14:15]
	v_mad_co_u64_u32 v[15:16], null, s5, v32, v[2:3]
	v_mov_b32_e32 v2, v23
	v_lshlrev_b64_e32 v[4:5], 2, v[5:6]
	v_lshlrev_b64_e32 v[16:17], 2, v[17:18]
	s_clause 0x8
	global_load_b32 v24, v31, s[8:9] offset:128
	global_load_b32 v25, v31, s[8:9] offset:144
	;; [unrolled: 1-line block ×9, first 2 shown]
	v_mad_co_u64_u32 v[18:19], null, s5, v30, v[2:3]
	v_add_co_u32 v4, s2, v26, v4
	s_wait_alu 0xf1ff
	v_add_co_ci_u32_e64 v5, s2, v29, v5, s2
	v_add_co_u32 v11, s2, v26, v11
	v_mov_b32_e32 v21, v15
	s_wait_alu 0xf1ff
	v_add_co_ci_u32_e64 v12, s2, v29, v12, s2
	v_add_co_u32 v13, s2, v26, v13
	v_mov_b32_e32 v23, v18
	s_wait_alu 0xf1ff
	v_add_co_ci_u32_e64 v14, s2, v29, v14, s2
	s_clause 0x5
	global_load_b32 v2, v[0:1], off
	global_load_b32 v8, v[7:8], off
	;; [unrolled: 1-line block ×6, first 2 shown]
	v_lshlrev_b64_e32 v[0:1], 2, v[20:21]
	v_add_co_u32 v4, s2, v26, v16
	v_lshlrev_b64_e32 v[6:7], 2, v[22:23]
	s_wait_alu 0xf1ff
	v_add_co_ci_u32_e64 v5, s2, v29, v17, s2
	s_delay_alu instid0(VALU_DEP_4)
	v_add_co_u32 v0, s2, v26, v0
	s_wait_alu 0xf1ff
	v_add_co_ci_u32_e64 v1, s2, v29, v1, s2
	v_add_co_u32 v6, s2, v26, v6
	s_wait_alu 0xf1ff
	v_add_co_ci_u32_e64 v7, s2, v29, v7, s2
	s_clause 0x2
	global_load_b32 v4, v[4:5], off
	global_load_b32 v0, v[0:1], off
	;; [unrolled: 1-line block ×3, first 2 shown]
	v_lshl_add_u32 v5, v27, 2, v31
	s_wait_loadcnt 0x21
	v_lshrrev_b32_e32 v73, 16, v28
	s_wait_loadcnt 0x20
	v_lshrrev_b32_e32 v75, 16, v49
	;; [unrolled: 2-line block ×16, first 2 shown]
	v_mul_f16_e32 v74, v6, v28
	v_mul_f16_e32 v6, v6, v73
	;; [unrolled: 1-line block ×16, first 2 shown]
	v_fma_f16 v73, v56, v73, -v74
	v_fmac_f16_e32 v6, v56, v28
	v_fma_f16 v74, v57, v75, -v76
	v_fma_f16 v75, v58, v77, -v78
	v_fmac_f16_e32 v7, v57, v49
	v_fmac_f16_e32 v13, v58, v50
	v_fma_f16 v76, v59, v79, -v80
	v_fma_f16 v77, v60, v81, -v82
	v_fmac_f16_e32 v14, v59, v51
	;; [unrolled: 4-line block ×3, first 2 shown]
	v_fmac_f16_e32 v17, v62, v54
	v_fma_f16 v80, v63, v87, -v88
	v_fmac_f16_e32 v18, v63, v55
	s_wait_loadcnt 0x11
	v_lshrrev_b32_e32 v19, 16, v24
	s_wait_loadcnt 0x10
	v_lshrrev_b32_e32 v20, 16, v25
	s_wait_loadcnt 0xf
	v_lshrrev_b32_e32 v21, 16, v64
	s_wait_loadcnt 0xe
	v_lshrrev_b32_e32 v22, 16, v65
	s_wait_loadcnt 0xd
	v_lshrrev_b32_e32 v23, 16, v66
	s_wait_loadcnt 0xc
	v_lshrrev_b32_e32 v26, 16, v67
	s_wait_loadcnt 0xb
	v_lshrrev_b32_e32 v29, 16, v68
	s_wait_loadcnt 0xa
	v_lshrrev_b32_e32 v71, 16, v69
	s_wait_loadcnt 0x9
	v_lshrrev_b32_e32 v72, 16, v70
	s_wait_loadcnt 0x8
	v_lshrrev_b32_e32 v89, 16, v2
	s_wait_loadcnt 0x7
	v_lshrrev_b32_e32 v91, 16, v8
	s_wait_loadcnt 0x6
	v_lshrrev_b32_e32 v93, 16, v9
	s_wait_loadcnt 0x5
	v_lshrrev_b32_e32 v95, 16, v10
	s_wait_loadcnt 0x4
	v_lshrrev_b32_e32 v97, 16, v11
	s_wait_loadcnt 0x3
	v_lshrrev_b32_e32 v99, 16, v12
	v_mul_f16_e32 v90, v19, v2
	v_mul_f16_e32 v19, v19, v89
	;; [unrolled: 1-line block ×12, first 2 shown]
	v_fma_f16 v81, v24, v89, -v90
	s_wait_loadcnt 0x2
	v_lshrrev_b32_e32 v101, 16, v4
	s_wait_loadcnt 0x1
	v_lshrrev_b32_e32 v103, 16, v0
	;; [unrolled: 2-line block ×3, first 2 shown]
	v_mul_f16_e32 v102, v29, v4
	v_mul_f16_e32 v104, v71, v0
	;; [unrolled: 1-line block ×6, first 2 shown]
	v_fmac_f16_e32 v19, v24, v2
	v_fma_f16 v82, v25, v91, -v92
	v_fma_f16 v83, v64, v93, -v94
	;; [unrolled: 1-line block ×8, first 2 shown]
	v_fmac_f16_e32 v20, v25, v8
	v_fmac_f16_e32 v21, v64, v9
	;; [unrolled: 1-line block ×8, first 2 shown]
	v_pack_b32_f16 v0, v6, v73
	v_pack_b32_f16 v1, v7, v74
	;; [unrolled: 1-line block ×17, first 2 shown]
	ds_store_b32 v48, v0
	ds_store_2addr_b32 v5, v1, v2 offset0:4 offset1:8
	ds_store_2addr_b32 v5, v4, v6 offset0:12 offset1:16
	;; [unrolled: 1-line block ×8, first 2 shown]
.LBB0_3:
	s_or_b32 exec_lo, exec_lo, s3
	s_load_b64 s[2:3], s[0:1], 0x20
	v_dual_mov_b32 v28, 0 :: v_dual_lshlrev_b32 v49, 2, v27
	global_wb scope:SCOPE_SE
	s_wait_dscnt 0x0
	s_wait_kmcnt 0x0
	s_barrier_signal -1
	s_barrier_wait -1
	global_inv scope:SCOPE_SE
                                        ; implicit-def: $vgpr19
                                        ; implicit-def: $vgpr16
                                        ; implicit-def: $vgpr21
                                        ; implicit-def: $vgpr14
                                        ; implicit-def: $vgpr12
                                        ; implicit-def: $vgpr23
                                        ; implicit-def: $vgpr0
                                        ; implicit-def: $vgpr2
                                        ; implicit-def: $vgpr1
                                        ; implicit-def: $vgpr25
	s_and_saveexec_b32 s4, vcc_lo
	s_cbranch_execz .LBB0_5
; %bb.4:
	v_lshl_add_u32 v2, v47, 2, v49
	ds_load_b32 v28, v48
	ds_load_2addr_b32 v[25:26], v2 offset0:4 offset1:8
	ds_load_2addr_b32 v[0:1], v2 offset0:60 offset1:64
	ds_load_2addr_b32 v[22:23], v2 offset0:12 offset1:16
	ds_load_2addr_b32 v[20:21], v2 offset0:20 offset1:24
	ds_load_2addr_b32 v[18:19], v2 offset0:28 offset1:32
	ds_load_2addr_b32 v[16:17], v2 offset0:36 offset1:40
	ds_load_2addr_b32 v[14:15], v2 offset0:44 offset1:48
	ds_load_2addr_b32 v[12:13], v2 offset0:52 offset1:56
	s_wait_dscnt 0x7
	v_alignbit_b32 v2, v26, v26, 16
	s_wait_dscnt 0x6
	v_alignbit_b32 v0, v0, v0, 16
.LBB0_5:
	s_wait_alu 0xfffe
	s_or_b32 exec_lo, exec_lo, s4
	v_pk_add_f16 v76, v1, v25 op_sel:[1,1] op_sel_hi:[0,0]
	v_pk_add_f16 v51, v25, v1 op_sel:[1,1] op_sel_hi:[0,0] neg_lo:[0,1] neg_hi:[0,1]
	v_pk_add_f16 v81, v0, v2
	v_pk_add_f16 v58, v2, v0 neg_lo:[0,1] neg_hi:[0,1]
	s_wait_dscnt 0x0
	v_pk_add_f16 v54, v22, v13 neg_lo:[0,1] neg_hi:[0,1]
	v_lshrrev_b32_e32 v77, 16, v76
	v_mul_f16_e32 v64, 0xb5c8, v51
	v_mul_f16_e32 v66, 0xb964, v51
	v_lshrrev_b32_e32 v82, 16, v81
	v_mul_f16_e32 v65, 0xb964, v58
	v_mul_f16_e32 v70, 0xbbf7, v58
	v_fmamk_f16 v5, v77, 0x3b76, v64
	v_fmamk_f16 v7, v77, 0x39e9, v66
	v_lshrrev_b32_e32 v59, 16, v54
	v_pk_add_f16 v53, v23, v12 neg_lo:[0,1] neg_hi:[0,1]
	v_mul_f16_e32 v72, 0xbb29, v51
	v_mul_f16_e32 v4, 0xbbf7, v51
	v_fmamk_f16 v60, v82, 0x39e9, v65
	v_fmamk_f16 v63, v82, 0x2de8, v70
	v_pk_add_f16 v85, v13, v22
	v_mul_f16_e32 v67, 0xbb29, v59
	v_mul_f16_e32 v74, 0xba62, v59
	v_lshrrev_b32_e32 v56, 16, v53
	v_pk_add_f16 v52, v20, v15 neg_lo:[0,1] neg_hi:[0,1]
	v_add_f16_e32 v5, v5, v28
	v_add_f16_e32 v7, v7, v28
	v_fmamk_f16 v26, v77, 0x3722, v72
	v_fma_f16 v61, v77, 0x2de8, -v4
	v_fmac_f16_e32 v4, 0x2de8, v77
	v_mul_f16_e32 v75, 0xba62, v58
	v_mul_f16_e32 v57, 0xb1e1, v58
	v_fmamk_f16 v92, v85, 0x3722, v67
	v_fmamk_f16 v93, v85, 0xb8d2, v74
	v_pk_add_f16 v87, v12, v23
	v_mul_f16_e32 v71, 0xbbf7, v56
	v_mul_f16_e32 v79, 0xb1e1, v56
	v_lshrrev_b32_e32 v55, 16, v52
	v_add_f16_e32 v5, v60, v5
	v_add_f16_e32 v7, v63, v7
	v_fmamk_f16 v89, v82, 0xb8d2, v75
	v_fma_f16 v104, v82, 0xbbdd, -v57
	v_fmac_f16_e32 v57, 0xbbdd, v82
	v_mul_f16_e32 v83, 0x31e1, v59
	v_mul_f16_e32 v95, 0x3bb2, v59
	v_fmamk_f16 v98, v87, 0x2de8, v71
	v_fmamk_f16 v99, v87, 0xbbdd, v79
	v_pk_add_f16 v90, v15, v20
	v_mul_f16_e32 v73, 0xbbb2, v55
	v_mul_f16_e32 v80, 0x3836, v55
	v_pk_add_f16 v24, v21, v14
	v_pk_add_f16 v29, v21, v14 neg_lo:[0,1] neg_hi:[0,1]
	v_add_f16_e32 v97, v26, v28
	v_add_f16_e32 v4, v4, v28
	;; [unrolled: 1-line block ×4, first 2 shown]
	v_fmamk_f16 v96, v85, 0xbbdd, v83
	v_fma_f16 v103, v85, 0xb461, -v95
	v_fmac_f16_e32 v95, 0xb461, v85
	v_mul_f16_e32 v86, 0x3bb2, v56
	v_mul_f16_e32 v102, 0x35c8, v56
	v_fmamk_f16 v106, v90, 0xb461, v73
	v_fmamk_f16 v108, v90, 0xbacd, v80
	v_mul_f16_e32 v78, 0xb8d2, v24
	v_lshrrev_b32_e32 v91, 16, v29
	v_mul_f16_e32 v84, 0xb461, v24
	v_pk_add_f16 v26, v18, v17
	v_pk_add_f16 v63, v18, v17 neg_lo:[0,1] neg_hi:[0,1]
	v_add_f16_e32 v60, v89, v97
	v_add_f16_e32 v4, v57, v4
	;; [unrolled: 1-line block ×4, first 2 shown]
	v_fmamk_f16 v105, v87, 0xb461, v86
	v_fma_f16 v100, v87, 0x3b76, -v102
	v_fmac_f16_e32 v102, 0x3b76, v87
	v_mul_f16_e32 v88, 0x3964, v55
	v_mul_f16_e32 v109, 0xbb29, v55
	v_fmamk_f16 v111, v91, 0xba62, v78
	v_fmamk_f16 v112, v91, 0x3bb2, v84
	v_mul_f16_e32 v89, 0xbacd, v26
	v_lshrrev_b32_e32 v97, 16, v63
	v_add_f16_e32 v93, v96, v60
	v_mul_f16_e32 v92, 0x3722, v26
	v_add_f16_e32 v4, v95, v4
	v_pk_add_f16 v57, v19, v16
	v_add_f16_e32 v5, v106, v5
	v_pk_add_f16 v60, v19, v16 neg_lo:[0,1] neg_hi:[0,1]
	v_add_f16_e32 v7, v108, v7
	v_fmamk_f16 v110, v90, 0x39e9, v88
	v_fma_f16 v62, v90, 0x3722, -v109
	v_fmac_f16_e32 v109, 0x3722, v90
	v_mul_f16_e32 v94, 0x3b76, v24
	v_mul_f16_e32 v113, 0xbacd, v24
	v_fmamk_f16 v98, v97, 0xb836, v89
	v_fmamk_f16 v106, v97, 0x3b29, v92
	v_add_f16_e32 v105, v105, v93
	v_mul_f16_e32 v93, 0xbbdd, v57
	v_add_f16_e32 v5, v111, v5
	v_lshrrev_b32_e32 v99, 16, v60
	v_add_f16_e32 v7, v112, v7
	v_mul_f16_e32 v95, 0x3b76, v57
	v_add_f16_e32 v102, v102, v4
	v_fmamk_f16 v114, v91, 0xb5c8, v94
	v_fmamk_f16 v107, v91, 0x3836, v113
	v_mul_f16_e32 v96, 0x2de8, v26
	v_add_f16_e32 v4, v98, v5
	v_fmamk_f16 v5, v99, 0xb1e1, v93
	v_add_f16_e32 v7, v106, v7
	v_fmamk_f16 v98, v99, 0x35c8, v95
	v_add_f16_e32 v105, v110, v105
	v_mul_f16_e32 v106, 0xb8d2, v26
	v_fmac_f16_e32 v113, 0xb836, v91
	v_add_f16_e32 v102, v109, v102
	v_mul_f16_e32 v8, 0xbbb2, v51
	v_add_f16_e32 v5, v5, v4
	v_add_f16_e32 v4, v98, v7
	v_fmamk_f16 v7, v97, 0xbbf7, v96
	v_fmamk_f16 v120, v97, 0xba62, v106
	v_add_f16_e32 v105, v114, v105
	v_mul_f16_e32 v108, 0x39e9, v57
	v_fmac_f16_e32 v106, 0x3a62, v97
	v_add_f16_e32 v109, v113, v102
	v_mul_f16_e32 v9, 0xba62, v51
	v_fma_f16 v6, v77, 0xb461, -v8
	v_fmac_f16_e32 v8, 0xb461, v77
	v_mul_f16_e32 v11, 0x3836, v58
	v_add_f16_e32 v7, v7, v105
	v_fmamk_f16 v102, v99, 0xb964, v108
	v_fmac_f16_e32 v108, 0x3964, v99
	v_add_f16_e32 v105, v106, v109
	v_fma_f16 v10, v77, 0xb8d2, -v9
	v_fmac_f16_e32 v9, 0xb8d2, v77
	v_fma_f16 v101, v82, 0xbacd, -v11
	v_mul_f16_e32 v106, 0x3bb2, v58
	v_fmac_f16_e32 v11, 0xbacd, v82
	v_add_f16_e32 v109, v6, v28
	v_add_f16_e32 v6, v108, v105
	v_mul_f16_e32 v108, 0x3964, v59
	v_add_f16_e32 v8, v8, v28
	v_fma_f16 v105, v82, 0xb461, -v106
	v_fmac_f16_e32 v106, 0xb461, v82
	v_add_f16_e32 v101, v101, v109
	v_mul_f16_e32 v109, 0xb5c8, v59
	v_add_f16_e32 v10, v10, v28
	v_add_f16_e32 v9, v9, v28
	;; [unrolled: 1-line block ×3, first 2 shown]
	v_fma_f16 v11, v85, 0x39e9, -v108
	v_fmac_f16_e32 v108, 0x39e9, v85
	v_add_f16_e32 v10, v105, v10
	v_fma_f16 v105, v85, 0x3b76, -v109
	v_add_f16_e32 v9, v106, v9
	v_mul_f16_e32 v106, 0xbb29, v56
	v_fmac_f16_e32 v109, 0x3b76, v85
	v_add_f16_e32 v11, v11, v101
	v_mul_f16_e32 v101, 0xb836, v56
	v_add_f16_e32 v8, v108, v8
	v_fma_f16 v108, v87, 0x3722, -v106
	v_fmac_f16_e32 v106, 0x3722, v87
	v_add_f16_e32 v10, v105, v10
	v_fma_f16 v105, v87, 0xbacd, -v101
	v_add_f16_e32 v9, v109, v9
	v_mul_f16_e32 v109, 0xb1e1, v55
	v_fmac_f16_e32 v101, 0xbacd, v87
	v_add_f16_e32 v11, v108, v11
	v_mul_f16_e32 v108, 0x3bf7, v55
	v_add_f16_e32 v8, v106, v8
	v_fma_f16 v106, v90, 0xbbdd, -v109
	v_fmac_f16_e32 v109, 0xbbdd, v90
	v_add_f16_e32 v9, v101, v9
	v_mul_f16_e32 v101, 0x2de8, v24
	v_mul_f16_e32 v98, 0xbacd, v57
	v_add_f16_e32 v10, v105, v10
	v_fma_f16 v105, v90, 0x2de8, -v108
	v_fmac_f16_e32 v108, 0x2de8, v90
	v_add_f16_e32 v11, v106, v11
	v_mul_f16_e32 v106, 0x39e9, v24
	v_add_f16_e32 v8, v109, v8
	v_fmamk_f16 v109, v91, 0xbbf7, v101
	v_fmamk_f16 v110, v99, 0xb836, v98
	v_fmac_f16_e32 v101, 0x3bf7, v91
	v_add_f16_e32 v10, v105, v10
	v_fmamk_f16 v105, v91, 0x3964, v106
	v_add_f16_e32 v9, v108, v9
	v_mul_f16_e32 v108, 0x3b76, v26
	v_fmac_f16_e32 v106, 0xb964, v91
	v_add_f16_e32 v11, v109, v11
	v_mul_f16_e32 v109, 0xbbdd, v26
	v_lshrrev_b32_e32 v50, 16, v51
	v_add_f16_e32 v7, v110, v7
	v_add_f16_e32 v8, v101, v8
	v_fmamk_f16 v101, v97, 0x35c8, v108
	v_fmac_f16_e32 v108, 0xb5c8, v97
	v_add_f16_e32 v10, v105, v10
	v_fmamk_f16 v105, v97, 0x31e1, v109
	v_add_f16_e32 v9, v106, v9
	v_mul_f16_e32 v106, 0xb8d2, v57
	v_mul_f16_e32 v110, 0x3722, v57
	;; [unrolled: 1-line block ×3, first 2 shown]
	v_add_f16_e32 v11, v101, v11
	v_add_f16_e32 v8, v108, v8
	v_fmamk_f16 v101, v99, 0x3a62, v106
	v_add_f16_e32 v108, v105, v10
	v_fmamk_f16 v111, v99, 0xbb29, v110
	v_lshrrev_b32_e32 v112, 16, v58
	v_lshrrev_b32_e32 v68, 16, v28
	v_fmac_f16_e32 v109, 0xb1e1, v97
	v_fmac_f16_e32 v106, 0xba62, v99
	v_add_f16_e32 v10, v101, v11
	v_mul_f16_e32 v105, 0xbb29, v50
	v_add_f16_e32 v11, v111, v108
	v_mul_f16_e32 v101, 0xbbf7, v112
	v_fma_f16 v108, v76, 0x39e9, -v69
	v_add_f16_e32 v109, v109, v9
	v_fmac_f16_e32 v110, 0x3b29, v99
	v_add_f16_e32 v9, v106, v8
	v_fma_f16 v8, v76, 0x3722, -v105
	v_mul_f16_e32 v106, 0xba62, v112
	v_fma_f16 v111, v81, 0x2de8, -v101
	v_add_f16_e32 v108, v108, v68
	v_mul_f16_e32 v113, 0xbbf7, v50
	v_add_f16_e32 v114, v8, v68
	v_fma_f16 v115, v81, 0xb8d2, -v106
	v_add_f16_e32 v8, v110, v109
	v_add_f16_e32 v110, v111, v108
	v_fmamk_f16 v108, v76, 0x2de8, v113
	v_mul_f16_e32 v109, 0xb1e1, v112
	v_add_f16_e32 v114, v115, v114
	v_add_f16_e32 v61, v61, v28
	v_fma_f16 v111, v76, 0x2de8, -v113
	v_add_f16_e32 v108, v108, v68
	v_fmamk_f16 v113, v81, 0xbbdd, v109
	v_mul_f16_e32 v115, 0xbbb2, v50
	v_fma_f16 v109, v81, 0xbbdd, -v109
	v_add_f16_e32 v111, v111, v68
	v_add_f16_e32 v61, v104, v61
	;; [unrolled: 1-line block ×3, first 2 shown]
	v_fmamk_f16 v104, v76, 0xb461, v115
	v_mul_f16_e32 v108, 0x3836, v112
	v_add_f16_e32 v116, v109, v111
	v_fma_f16 v109, v76, 0xb461, -v115
	v_mul_f16_e32 v111, 0xba62, v50
	v_add_f16_e32 v104, v104, v68
	v_fmamk_f16 v115, v81, 0xbacd, v108
	v_fma_f16 v108, v81, 0xbacd, -v108
	v_add_f16_e32 v109, v109, v68
	v_fmamk_f16 v117, v76, 0xb8d2, v111
	v_mul_f16_e32 v118, 0x3bb2, v112
	v_add_f16_e32 v115, v115, v104
	v_mul_f16_e32 v104, 0xb836, v51
	v_add_f16_e32 v119, v108, v109
	v_add_f16_e32 v108, v117, v68
	v_fmamk_f16 v109, v81, 0xb461, v118
	v_fma_f16 v111, v76, 0xb8d2, -v111
	v_fma_f16 v117, v77, 0xbacd, -v104
	v_mul_f16_e32 v121, 0x3b29, v58
	v_mul_f16_e32 v122, 0xb836, v50
	v_fma_f16 v118, v81, 0xb461, -v118
	v_add_f16_e32 v111, v111, v68
	v_add_f16_e32 v117, v117, v28
	v_fma_f16 v123, v82, 0x3722, -v121
	v_fmamk_f16 v124, v76, 0xbacd, v122
	v_add_f16_e32 v125, v109, v108
	v_mul_f16_e32 v108, 0x3b29, v112
	v_fmac_f16_e32 v104, 0xbacd, v77
	v_fma_f16 v122, v76, 0xbacd, -v122
	v_add_f16_e32 v118, v118, v111
	v_add_f16_e32 v117, v123, v117
	;; [unrolled: 1-line block ×3, first 2 shown]
	v_fmamk_f16 v111, v81, 0x3722, v108
	v_fmac_f16_e32 v121, 0x3722, v82
	v_pk_mul_f16 v123, 0xb5c8b1e1, v51
	v_add_f16_e32 v51, v104, v28
	v_fma_f16 v104, v81, 0x3722, -v108
	v_add_f16_e32 v108, v122, v68
	v_add_f16_e32 v122, v111, v109
	v_pk_fma_f16 v109, 0xbbdd3b76, v76, v123 op_sel:[0,0,1] op_sel_hi:[1,1,0] neg_lo:[0,0,1] neg_hi:[0,0,1]
	v_add_f16_e32 v51, v121, v51
	v_mul_f16_e32 v50, 0xb1e1, v50
	v_add_f16_e32 v121, v104, v108
	v_pk_mul_f16 v108, 0xb96435c8, v58
	v_pk_add_f16 v58, v109, v28 op_sel:[0,1] op_sel_hi:[1,0]
	v_mul_f16_e32 v127, 0x35c8, v112
	v_lshrrev_b32_e32 v111, 16, v85
	v_mul_f16_e32 v104, 0xba62, v54
	v_pk_fma_f16 v112, 0x3b7639e9, v81, v108 op_sel:[0,0,1] op_sel_hi:[1,1,0] neg_lo:[0,0,1] neg_hi:[0,0,1]
	v_fma_f16 v109, v76, 0xbbdd, -v50
	v_fma_f16 v126, v81, 0x3b76, -v127
	v_add_f16_e32 v61, v103, v61
	v_fma_f16 v128, v111, 0xb8d2, -v104
	v_pk_add_f16 v58, v112, v58
	v_mul_f16_e32 v112, 0x3bb2, v54
	v_add_f16_e32 v124, v109, v68
	v_mul_f16_e32 v109, 0x31e1, v54
	v_add_f16_e64 v128, v128, v110
	v_mul_f16_e32 v110, 0x3964, v54
	v_fma_f16 v129, 0xb461, v111, v112
	v_fma_f16 v112, v111, 0xb461, -v112
	v_add_f16_e32 v124, v126, v124
	v_fma_f16 v126, v111, 0xbbdd, -v109
	v_fmamk_f16 v103, v111, 0x39e9, v110
	v_fma_f16 v110, v111, 0x39e9, -v110
	v_add_f16_e32 v116, v112, v116
	v_mul_f16_e32 v112, 0xb5c8, v54
	v_add_f16_e32 v114, v126, v114
	v_add_f16_e32 v126, v103, v115
	v_mul_f16_e32 v59, 0xbbf7, v59
	v_mul_f16_e32 v103, 0xbbf7, v54
	v_add_f16_e32 v119, v110, v119
	v_fmamk_f16 v110, v111, 0x3b76, v112
	v_add_f16_e64 v113, v129, v113
	v_fma_f16 v115, v85, 0x2de8, -v59
	v_fma_f16 v129, 0x2de8, v111, v103
	v_fmac_f16_e32 v59, 0x2de8, v85
	v_add_f16_e32 v125, v110, v125
	v_pk_mul_f16 v110, 0xb836bb29, v54
	v_fma_f16 v112, v111, 0x3b76, -v112
	v_add_f16_e32 v117, v115, v117
	v_add_f16_e64 v122, v129, v122
	v_add_f16_e32 v51, v59, v51
	v_fma_f16 v59, v111, 0x2de8, -v103
	v_mul_f16_e32 v54, 0xb836, v54
	v_lshrrev_b32_e32 v115, 16, v87
	v_mul_f16_e32 v103, 0xb1e1, v53
	v_pk_fma_f16 v129, 0x3722bacd, v85, v110 op_sel:[0,0,1] op_sel_hi:[1,1,0] neg_lo:[0,0,1] neg_hi:[0,0,1]
	v_add_f16_e32 v118, v112, v118
	v_add_f16_e32 v59, v59, v121
	v_fma_f16 v121, v111, 0xbacd, -v54
	v_mul_f16_e32 v112, 0x3bb2, v53
	v_fma_f16 v130, v115, 0xbbdd, -v103
	v_pk_add_f16 v58, v129, v58 op_sel:[1,0] op_sel_hi:[0,1]
	v_mul_f16_e64 v129, 0x35c8, v53
	v_add_f16_e32 v121, v121, v124
	v_fma_f16 v124, v115, 0xb461, -v112
	v_add_f16_e64 v128, v130, v128
	v_mul_f16_e64 v130, 0xbb29, v53
	v_fma_f16 v131, 0x3b76, v115, v129
	v_fma_f16 v129, v115, 0x3b76, -v129
	v_add_f16_e32 v124, v124, v114
	v_add_f16_e32 v61, v100, v61
	v_fma_f16 v100, 0x3722, v115, v130
	v_fma_f16 v114, v115, 0x3722, -v130
	v_add_f16_e64 v129, v129, v116
	v_mul_f16_e32 v116, 0xb836, v53
	v_mul_f16_e32 v56, 0x3a62, v56
	v_add_f16_e32 v126, v100, v126
	v_mul_f16_e32 v100, 0x3a62, v53
	v_add_f16_e32 v119, v114, v119
	v_fmamk_f16 v114, v115, 0xbacd, v116
	v_fma_f16 v116, v115, 0xbacd, -v116
	v_fma_f16 v130, v87, 0xb8d2, -v56
	v_fmac_f16_e32 v56, 0xb8d2, v87
	v_add_f16_e64 v113, v131, v113
	v_fma_f16 v131, 0xb8d2, v115, v100
	v_add_f16_e32 v125, v114, v125
	v_add_f16_e64 v132, v116, v118
	v_add_f16_e32 v51, v56, v51
	v_pk_mul_f16 v114, 0x3964bbf7, v53
	v_fma_f16 v56, v115, 0xb8d2, -v100
	v_lshrrev_b32_e32 v118, 16, v90
	v_mul_f16_e32 v100, 0x3836, v52
	v_add_f16_e64 v117, v130, v117
	v_add_f16_e64 v122, v131, v122
	v_mul_f16_e64 v130, 0x3964, v53
	v_pk_fma_f16 v53, 0x2de839e9, v87, v114 op_sel:[0,0,1] op_sel_hi:[1,1,0] neg_lo:[0,0,1] neg_hi:[0,0,1]
	v_fma_f16 v131, v118, 0xbacd, -v100
	v_add_f16_e32 v56, v56, v59
	v_mul_f16_e32 v116, 0x3964, v52
	v_fma_f16 v59, v115, 0x39e9, -v130
	v_pk_add_f16 v53, v53, v58 op_sel:[1,0] op_sel_hi:[0,1]
	v_mul_f16_e32 v58, 0xbb29, v52
	v_add_f16_e64 v128, v131, v128
	v_mul_f16_e64 v131, 0xb1e1, v52
	v_add_f16_e32 v59, v59, v121
	v_fma_f16 v121, v118, 0x39e9, -v116
	v_fma_f16 v133, 0x3722, v118, v58
	v_fma_f16 v58, v118, 0x3722, -v58
	v_add_f16_e32 v61, v62, v61
	v_fma_f16 v62, 0xbbdd, v118, v131
	v_add_f16_e32 v121, v121, v124
	v_add_f16_e64 v124, v133, v113
	v_add_f16_e64 v58, v58, v129
	v_fma_f16 v113, v118, 0xbbdd, -v131
	v_mul_f16_e64 v129, 0x3bf7, v52
	v_add_f16_e32 v62, v62, v126
	v_mul_f16_e32 v55, 0xb5c8, v55
	v_mul_f16_e32 v126, 0xb5c8, v52
	v_add_f16_e64 v131, v113, v119
	v_fma_f16 v113, 0x2de8, v118, v129
	v_fma_f16 v119, v118, 0x2de8, -v129
	v_fma_f16 v129, v90, 0x3b76, -v55
	v_fma_f16 v133, 0x3b76, v118, v126
	v_fmac_f16_e32 v55, 0x3b76, v90
	v_add_f16_e32 v125, v113, v125
	v_mul_f16_e32 v113, 0x3bb2, v29
	v_add_f16_e64 v129, v129, v117
	v_add_f16_e64 v133, v133, v122
	v_pk_mul_f16 v117, 0xba62bbb2, v52
	v_lshrrev_b32_e32 v122, 16, v24
	v_add_f16_e32 v51, v55, v51
	v_fma_f16 v55, v118, 0x3b76, -v126
	v_mul_f16_e64 v136, 0xba62, v52
	v_pk_fma_f16 v52, 0xb461b8d2, v90, v117 op_sel:[0,0,1] op_sel_hi:[1,1,0] neg_lo:[0,0,1] neg_hi:[0,0,1]
	v_fma_f16 v126, v122, 0xb461, -v113
	v_add_f16_e64 v132, v119, v132
	v_add_f16_e32 v55, v55, v56
	v_fma_f16 v56, v118, 0xb8d2, -v136
	v_mul_f16_e32 v119, 0xb5c8, v29
	v_pk_add_f16 v52, v52, v53 op_sel:[1,0] op_sel_hi:[0,1]
	v_mul_f16_e32 v53, 0xb836, v29
	v_add_f16_e64 v128, v126, v128
	v_mul_f16_e32 v126, 0x3bf7, v29
	v_add_f16_e32 v56, v56, v59
	v_fma_f16 v59, v122, 0x3b76, -v119
	v_fma_f16 v134, 0xbacd, v122, v53
	v_fma_f16 v53, v122, 0xbacd, -v53
	v_add_f16_e32 v61, v107, v61
	v_fmamk_f16 v107, v122, 0x2de8, v126
	v_add_f16_e32 v59, v59, v121
	v_add_f16_e64 v121, v134, v124
	v_add_f16_e32 v53, v53, v58
	v_fma_f16 v58, v122, 0x2de8, -v126
	v_mul_f16_e32 v124, 0xb964, v29
	v_add_f16_e32 v62, v107, v62
	v_mul_f16_e32 v107, 0xbbdd, v24
	v_mul_f16_e32 v126, 0xb1e1, v29
	v_add_f16_e64 v58, v58, v131
	v_fma_f16 v131, 0x39e9, v122, v124
	v_fma_f16 v124, v122, 0x39e9, -v124
	v_fma_f16 v134, 0x31e1, v91, v107
	v_fmac_f16_e32 v107, 0xb1e1, v91
	v_fma_f16 v135, 0xbbdd, v122, v126
	v_add_f16_e64 v125, v131, v125
	v_add_f16_e64 v131, v124, v132
	v_pk_mul_f16 v124, 0x3b29ba62, v29
	v_add_f16_e32 v51, v107, v51
	v_lshrrev_b32_e32 v132, 16, v26
	v_mul_f16_e32 v107, 0x3b29, v63
	v_add_f16_e64 v129, v134, v129
	v_pk_fma_f16 v134, 0xb8d23722, v24, v124 op_sel:[0,0,1] op_sel_hi:[1,1,0] neg_lo:[0,0,1] neg_hi:[0,0,1]
	v_fma_f16 v126, v122, 0xbbdd, -v126
	v_mul_f16_e32 v29, 0x3b29, v29
	v_fma_f16 v137, v132, 0x3722, -v107
	v_add_f16_e64 v133, v135, v133
	v_pk_add_f16 v52, v134, v52 op_sel:[1,0] op_sel_hi:[0,1]
	v_mul_f16_e64 v134, 0x3a62, v63
	v_add_f16_e32 v55, v126, v55
	v_add_f16_e64 v128, v137, v128
	v_mul_f16_e64 v137, 0xb5c8, v63
	v_fma_f16 v135, v122, 0x3722, -v29
	v_mul_f16_e32 v126, 0xbbf7, v63
	v_fma_f16 v138, 0xb8d2, v132, v134
	v_fma_f16 v134, v132, 0xb8d2, -v134
	v_add_f16_e64 v139, v120, v61
	v_fma_f16 v61, 0x3b76, v132, v137
	v_add_f16_e64 v56, v135, v56
	v_fma_f16 v135, v132, 0x2de8, -v126
	v_add_f16_e64 v138, v138, v121
	v_add_f16_e64 v53, v134, v53
	v_fma_f16 v120, v132, 0x3b76, -v137
	v_mul_f16_e32 v121, 0xb1e1, v63
	v_add_f16_e32 v61, v61, v62
	v_mul_f16_e32 v62, 0x39e9, v26
	v_mul_f16_e64 v134, 0x3964, v63
	v_add_f16_e64 v59, v135, v59
	v_add_f16_e32 v58, v120, v58
	v_fma_f16 v120, 0xbbdd, v132, v121
	v_fma_f16 v121, v132, 0xbbdd, -v121
	v_fma_f16 v135, 0xb964, v97, v62
	v_fma_f16 v137, 0x39e9, v132, v134
	v_fmac_f16_e32 v62, 0x3964, v97
	v_add_f16_e64 v140, v120, v125
	v_add_f16_e64 v131, v121, v131
	;; [unrolled: 1-line block ×5, first 2 shown]
	v_fma_f16 v51, v132, 0x39e9, -v134
	v_pk_mul_f16 v134, 0xbbb2b836, v63
	v_mul_f16_e32 v62, 0xbbb2, v63
	v_lshrrev_b32_e32 v135, 16, v57
	v_mul_f16_e32 v121, 0x35c8, v60
	v_mul_f16_e64 v133, 0xb836, v60
	v_add_f16_e32 v63, v51, v55
	v_pk_fma_f16 v51, 0xbacdb461, v26, v134 op_sel:[0,0,1] op_sel_hi:[1,1,0] neg_lo:[0,0,1] neg_hi:[0,0,1]
	v_fma_f16 v55, v132, 0xb461, -v62
	v_fma_f16 v120, v135, 0x3b76, -v121
	;; [unrolled: 1-line block ×3, first 2 shown]
	v_mul_f16_e64 v142, 0x3964, v60
	v_pk_add_f16 v143, v51, v52 op_sel:[1,0] op_sel_hi:[0,1]
	v_add_f16_e64 v144, v55, v56
	v_add_f16_e64 v51, v120, v128
	v_add_f16_e32 v52, v125, v59
	v_fma_f16 v55, 0x39e9, v135, v142
	v_fma_f16 v59, v135, 0x39e9, -v142
	v_pk_fma_f16 v120, 0xbbdd3b76, v76, v123 op_sel:[0,0,1] op_sel_hi:[1,1,0]
	v_mul_f16_e32 v125, 0x3b76, v81
	v_fmamk_f16 v50, v76, 0xbbdd, v50
	v_pk_mul_f16 v123, 0x3b7639e9, v81
	v_add_f16_e64 v56, v55, v138
	v_add_f16_e32 v53, v59, v53
	v_bfi_b32 v55, 0xffff, v127, v120
	v_perm_b32 v59, v28, v125, 0x5040100
	v_bfi_b32 v50, 0xffff, v50, v123
	v_alignbit_b32 v127, v108, v28, 16
	v_pk_mul_f16 v125, 0x3722bacd, v85
	v_mul_f16_e64 v128, 0xbacd, v111
	v_pk_add_f16 v55, v55, v59
	v_mul_f16_e64 v138, 0xba62, v60
	v_pk_add_f16 v50, v50, v127
	v_pack_b32_f16 v54, v54, v125
	v_bfi_b32 v59, 0xffff, v128, v110
	v_pk_mul_f16 v127, 0x2de839e9, v87
	v_mul_f16_e64 v142, 0x39e9, v115
	v_fma_f16 v128, 0xb8d2, v135, v138
	v_pk_add_f16 v50, v50, v55
	v_pk_add_f16 v54, v54, v59
	v_pack_b32_f16 v55, v130, v127
	v_mul_f16_e64 v130, 0x3b29, v60
	v_bfi_b32 v142, 0xffff, v142, v114
	v_add_f16_e64 v59, v128, v61
	v_fma_f16 v61, v135, 0xb8d2, -v138
	v_pk_add_f16 v50, v54, v50
	v_fma_f16 v138, 0x3722, v135, v130
	v_pk_add_f16 v55, v55, v142
	v_pk_mul_f16 v128, 0xb461b8d2, v90
	v_mul_f16_e64 v142, 0xb8d2, v118
	v_add_f16_e32 v54, v61, v58
	v_add_f16_e64 v58, v138, v140
	v_pk_add_f16 v50, v55, v50
	v_pack_b32_f16 v55, v136, v128
	v_bfi_b32 v61, 0xffff, v142, v117
	v_fma_f16 v136, v135, 0x3722, -v130
	v_mul_f16_e64 v138, 0x3722, v122
	v_pk_mul_f16 v130, 0xb8d23722, v24
	v_mul_f16_e32 v24, 0xbbb2, v60
	v_pk_add_f16 v61, v55, v61
	v_add_f16_e64 v55, v136, v131
	v_bfi_b32 v136, 0xffff, v138, v124
	v_pack_b32_f16 v29, v29, v130
	v_fma_f16 v138, 0xb461, v135, v24
	v_mul_f16_e64 v140, 0xb461, v132
	v_pk_mul_f16 v131, 0xbacdb461, v26
	v_pk_add_f16 v26, v61, v50
	v_pk_add_f16 v29, v136, v29
	v_add_f16_e64 v61, v138, v129
	v_bfi_b32 v50, 0xffff, v140, v134
	v_pack_b32_f16 v62, v62, v131
	v_pk_mul_f16 v136, 0x3bf7b1e1, v60
	v_mul_f16_e64 v138, 0x3bf7, v60
	v_mul_f16_e64 v60, 0x2de8, v135
	v_pk_mul_f16 v129, 0xbbdd2de8, v57
	v_fma_f16 v24, v135, 0xb461, -v24
	s_load_b64 s[0:1], s[0:1], 0x8
	v_pk_add_f16 v26, v29, v26
	v_pk_add_f16 v29, v50, v62
	v_bfi_b32 v50, 0xffff, v60, v136
	v_pack_b32_f16 v62, v138, v129
	v_add_f16_e32 v60, v24, v63
	v_pk_fma_f16 v24, 0xbbdd2de8, v57, v136 op_sel:[0,0,1] op_sel_hi:[1,1,0] neg_lo:[0,0,1] neg_hi:[0,0,1]
	v_mul_f16_e64 v140, 0xb461, v57
	v_pk_add_f16 v26, v29, v26
	v_pk_add_f16 v29, v50, v62
	v_fma_f16 v50, v135, 0x2de8, -v138
	v_pk_add_f16 v57, v24, v143 op_sel:[1,0] op_sel_hi:[0,1]
	v_fma_f16 v24, 0x3bb2, v99, v140
	v_fmac_f16_e64 v140, 0xbbb2, v99
	v_pk_add_f16 v63, v29, v26
	v_add_f16_e64 v62, v50, v144
	v_add_f16_e64 v29, v102, v139
	;; [unrolled: 1-line block ×4, first 2 shown]
	v_mul_lo_u16 v50, v47, 17
	global_wb scope:SCOPE_SE
	s_wait_kmcnt 0x0
	s_barrier_signal -1
	s_barrier_wait -1
	global_inv scope:SCOPE_SE
	s_and_saveexec_b32 s4, vcc_lo
	s_cbranch_execz .LBB0_7
; %bb.6:
	v_mul_f16_e32 v102, 0x3b76, v77
	v_mul_f16_e64 v137, 0x39e9, v77
	v_mul_f16_e32 v77, 0x3722, v77
	v_mul_f16_e64 v139, 0x39e9, v82
	v_mul_f16_e64 v140, 0x2de8, v82
	v_mul_f16_e32 v82, 0xb8d2, v82
	v_mul_f16_e64 v138, 0x39e9, v76
	v_sub_f16_e32 v72, v77, v72
	v_alignbit_b32 v77, v28, v28, 16
	v_mul_f16_e32 v76, 0x3722, v76
	v_mul_f16_e64 v142, 0x3722, v85
	v_mul_f16_e64 v143, 0xb8d2, v85
	v_mul_f16_e32 v85, 0xbbdd, v85
	v_pk_add_f16 v25, v25, v77 op_sel:[0,1] op_sel_hi:[1,0]
	v_add_f16_e32 v72, v72, v28
	v_sub_f16_e32 v75, v82, v75
	v_sub_f16_e64 v66, v137, v66
	v_mul_f16_e64 v141, 0x2de8, v81
	v_pk_add_f16 v2, v2, v25 op_sel:[1,0] op_sel_hi:[0,1]
	v_mul_f16_e64 v145, 0x2de8, v87
	v_mul_f16_e64 v146, 0xbbdd, v87
	v_mul_f16_e32 v87, 0xb461, v87
	v_add_f16_e32 v76, v105, v76
	v_add_f16_e32 v72, v75, v72
	v_sub_f16_e32 v75, v85, v83
	v_add_f16_e64 v69, v69, v138
	v_add_f16_e32 v28, v66, v28
	v_sub_f16_e64 v66, v140, v70
	v_pk_add_f16 v2, v22, v2
	v_mul_f16_e64 v144, 0xb8d2, v111
	v_mul_f16_e64 v148, 0xb461, v90
	;; [unrolled: 1-line block ×3, first 2 shown]
	v_mul_f16_e32 v90, 0x39e9, v90
	v_add_f16_e32 v76, v76, v68
	v_add_f16_e32 v72, v75, v72
	v_sub_f16_e32 v75, v87, v86
	v_add_f16_e32 v68, v69, v68
	v_add_f16_e64 v69, v101, v141
	v_add_f16_e32 v28, v66, v28
	v_sub_f16_e64 v66, v143, v74
	v_pk_add_f16 v2, v23, v2
	v_mul_f16_e32 v81, 0xb8d2, v81
	v_mul_f16_e64 v147, 0xbbdd, v115
	v_mul_f16_e64 v151, 0xba62, v91
	;; [unrolled: 1-line block ×3, first 2 shown]
	v_mul_f16_e32 v91, 0xb5c8, v91
	v_add_f16_e32 v72, v75, v72
	v_sub_f16_e32 v75, v90, v88
	v_add_f16_e32 v68, v69, v68
	v_add_f16_e64 v69, v104, v144
	v_add_f16_e32 v25, v66, v28
	v_sub_f16_e64 v28, v146, v79
	v_pk_add_f16 v2, v20, v2
	v_mul_f16_e32 v111, 0xbbdd, v111
	v_mul_f16_e64 v150, 0xbacd, v118
	v_mul_f16_e64 v153, 0xb836, v97
	v_add_f16_e32 v81, v106, v81
	v_mul_f16_e32 v106, 0x3b29, v97
	v_mul_f16_e32 v97, 0xbbf7, v97
	v_add_f16_e32 v72, v75, v72
	v_sub_f16_e32 v75, v94, v91
	v_add_f16_e32 v68, v69, v68
	v_add_f16_e64 v69, v103, v147
	v_add_f16_e32 v25, v28, v25
	v_sub_f16_e64 v28, v149, v80
	v_pk_add_f16 v2, v21, v2
	v_mul_f16_e32 v105, 0xb461, v122
	v_add_f16_e32 v76, v81, v76
	v_add_f16_e32 v81, v109, v111
	v_mul_f16_e32 v109, 0xb1e1, v99
	v_mul_f16_e32 v111, 0x35c8, v99
	;; [unrolled: 1-line block ×3, first 2 shown]
	v_alignbit_b32 v108, v108, v108, 16
	v_alignbit_b32 v82, v110, v110, 16
	v_add_f16_e32 v72, v75, v72
	v_sub_f16_e32 v74, v96, v97
	v_add_f16_e32 v68, v69, v68
	v_add_f16_e64 v69, v100, v150
	v_add_f16_e32 v25, v28, v25
	v_sub_f16_e64 v28, v84, v152
	v_pk_add_f16 v2, v18, v2
	v_sub_f16_e32 v18, v102, v64
	v_alignbit_b32 v110, v114, v114, 16
	v_add_f16_e32 v66, v74, v72
	v_add_f16_e32 v68, v69, v68
	;; [unrolled: 1-line block ×3, first 2 shown]
	v_sub_f16_e32 v69, v98, v99
	v_add_f16_e32 v25, v28, v25
	v_lshrrev_b32_e32 v21, 16, v125
	v_lshrrev_b32_e32 v28, 16, v82
	v_pk_add_f16 v64, v108, v123
	v_pk_add_f16 v2, v19, v2
	v_perm_b32 v18, v18, v120, 0x5040100
	v_sub_f16_e64 v19, v139, v65
	v_alignbit_b32 v83, v117, v117, 16
	v_add_f16_e32 v22, v22, v68
	v_add_f16_e32 v20, v69, v66
	v_lshrrev_b32_e32 v66, 16, v127
	v_lshrrev_b32_e32 v68, 16, v110
	v_add_f16_e32 v21, v28, v21
	v_pk_add_f16 v2, v16, v2
	v_pk_add_f16 v16, v18, v77
	v_pack_b32_f16 v18, v64, v19
	v_sub_f16_e64 v19, v142, v67
	v_mul_f16_e32 v115, 0xb461, v115
	v_alignbit_b32 v85, v124, v124, 16
	v_add_f16_e32 v28, v68, v66
	v_lshrrev_b32_e32 v65, 16, v128
	v_lshrrev_b32_e32 v66, 16, v83
	v_pk_add_f16 v2, v17, v2
	v_pk_add_f16 v16, v18, v16
	v_pack_b32_f16 v17, v21, v19
	v_sub_f16_e64 v18, v145, v71
	v_mul_f16_e32 v118, 0x39e9, v118
	v_add_f16_e32 v76, v81, v76
	v_add_f16_e32 v81, v112, v115
	v_alignbit_b32 v86, v134, v134, 16
	v_lshrrev_b32_e32 v64, 16, v85
	v_lshrrev_b32_e32 v67, 16, v130
	v_add_f16_e32 v19, v66, v65
	v_pk_add_f16 v2, v14, v2
	v_pk_add_f16 v14, v17, v16
	v_pack_b32_f16 v16, v28, v18
	v_sub_f16_e64 v17, v148, v73
	v_mul_f16_e32 v122, 0x3b76, v122
	v_add_f16_e32 v76, v81, v76
	v_add_f16_e32 v81, v116, v118
	v_alignbit_b32 v87, v136, v136, 16
	v_add_f16_e32 v21, v67, v64
	v_lshrrev_b32_e32 v18, 16, v86
	v_lshrrev_b32_e32 v28, 16, v131
	v_pk_add_f16 v2, v15, v2
	v_pk_add_f16 v14, v16, v14
	v_pack_b32_f16 v15, v19, v17
	v_sub_f16_e64 v16, v78, v151
	v_mul_f16_e64 v154, 0x3722, v132
	v_mul_f16_e64 v132, 0x2de8, v132
	v_add_f16_e32 v76, v81, v76
	v_add_f16_e32 v81, v122, v119
	;; [unrolled: 1-line block ×3, first 2 shown]
	v_pk_add_f16 v2, v12, v2
	v_pk_add_f16 v12, v15, v14
	v_pack_b32_f16 v14, v21, v16
	v_sub_f16_e64 v15, v89, v153
	v_bfi_b32 v16, 0xffff, v109, v87
	v_mul_f16_e64 v155, 0x3b76, v135
	v_mul_f16_e64 v112, 0xbacd, v135
	v_add_f16_e32 v76, v81, v76
	v_add_f16_e64 v81, v132, v126
	v_add_f16_e64 v23, v154, v107
	v_sub_f16_e32 v17, v92, v106
	v_pk_add_f16 v2, v13, v2
	v_pk_add_f16 v12, v14, v12
	v_pack_b32_f16 v13, v18, v15
	v_pk_add_f16 v14, v93, v16 neg_lo:[0,1] neg_hi:[0,1]
	v_pk_add_f16 v15, v129, v87
	v_add_f16_e32 v76, v81, v76
	v_add_f16_e64 v81, v112, v133
	v_add_f16_e32 v22, v23, v22
	v_add_f16_e64 v23, v155, v121
	v_add_f16_e32 v17, v17, v25
	v_sub_f16_e32 v16, v95, v111
	v_and_b32_e32 v18, 0xffff, v50
	v_pk_add_f16 v0, v0, v2 op_sel:[1,0] op_sel_hi:[0,1]
	v_pk_add_f16 v2, v13, v12
	v_bfi_b32 v12, 0xffff, v14, v15
	v_add_f16_e32 v70, v81, v76
	v_add_f16_e32 v13, v23, v22
	;; [unrolled: 1-line block ×3, first 2 shown]
	v_add_lshl_u32 v15, v27, v18, 2
	v_pk_add_f16 v0, v1, v0
	v_pk_add_f16 v1, v12, v2 op_sel:[0,1] op_sel_hi:[1,0]
	v_pack_b32_f16 v2, v20, v70
	v_pack_b32_f16 v12, v14, v13
	v_perm_b32 v13, v59, v10, 0x5040100
	v_perm_b32 v14, v56, v29, 0x5040100
	;; [unrolled: 1-line block ×4, first 2 shown]
	ds_store_2addr_b32 v15, v0, v1 offset1:1
	ds_store_2addr_b32 v15, v12, v2 offset0:2 offset1:3
	ds_store_2addr_b32 v15, v14, v13 offset0:4 offset1:5
	;; [unrolled: 1-line block ×3, first 2 shown]
	v_alignbit_b32 v0, v62, v63, 16
	v_alignbit_b32 v1, v63, v57, 16
	v_perm_b32 v2, v55, v8, 0x5040100
	v_perm_b32 v12, v60, v24, 0x5040100
	;; [unrolled: 1-line block ×7, first 2 shown]
	ds_store_2addr_b32 v15, v1, v0 offset0:8 offset1:9
	ds_store_2addr_b32 v15, v12, v2 offset0:10 offset1:11
	;; [unrolled: 1-line block ×4, first 2 shown]
	ds_store_b32 v15, v18 offset:64
.LBB0_7:
	s_wait_alu 0xfffe
	s_or_b32 exec_lo, exec_lo, s4
	v_mad_co_u64_u32 v[0:1], null, v47, 12, s[0:1]
	s_load_b128 s[4:7], s[2:3], 0x0
	global_wb scope:SCOPE_SE
	s_wait_dscnt 0x0
	s_wait_kmcnt 0x0
	s_barrier_signal -1
	s_barrier_wait -1
	global_inv scope:SCOPE_SE
	v_add_lshl_u32 v18, v27, v47, 2
	global_load_b96 v[0:2], v[0:1], off
	ds_load_2addr_b32 v[12:13], v18 offset1:17
	ds_load_2addr_b32 v[19:20], v18 offset0:34 offset1:51
	s_wait_dscnt 0x1
	v_lshrrev_b32_e32 v21, 16, v13
	s_wait_dscnt 0x0
	v_lshrrev_b32_e32 v22, 16, v19
	v_lshrrev_b32_e32 v23, 16, v20
	;; [unrolled: 1-line block ×3, first 2 shown]
	s_wait_loadcnt 0x0
	v_lshrrev_b32_e32 v15, 16, v0
	v_lshrrev_b32_e32 v16, 16, v1
	;; [unrolled: 1-line block ×3, first 2 shown]
	s_delay_alu instid0(VALU_DEP_3) | instskip(SKIP_1) | instid1(VALU_DEP_4)
	v_mul_f16_e32 v25, v21, v15
	v_mul_f16_e32 v27, v13, v15
	;; [unrolled: 1-line block ×6, first 2 shown]
	v_fma_f16 v13, v13, v0, -v25
	v_fmac_f16_e32 v27, v21, v0
	v_fma_f16 v19, v19, v1, -v28
	v_fmac_f16_e32 v64, v22, v1
	;; [unrolled: 2-line block ×3, first 2 shown]
	s_delay_alu instid0(VALU_DEP_4) | instskip(NEXT) | instid1(VALU_DEP_4)
	v_sub_f16_e32 v19, v12, v19
	v_sub_f16_e32 v21, v14, v64
	s_delay_alu instid0(VALU_DEP_4) | instskip(NEXT) | instid1(VALU_DEP_4)
	v_sub_f16_e32 v20, v13, v20
	v_sub_f16_e32 v22, v27, v66
	s_delay_alu instid0(VALU_DEP_4) | instskip(NEXT) | instid1(VALU_DEP_4)
	v_fma_f16 v23, v12, 2.0, -v19
	v_fma_f16 v14, v14, 2.0, -v21
	s_delay_alu instid0(VALU_DEP_4) | instskip(NEXT) | instid1(VALU_DEP_4)
	v_fma_f16 v12, v13, 2.0, -v20
	v_fma_f16 v25, v27, 2.0, -v22
	v_sub_f16_e32 v28, v19, v22
	v_add_f16_e32 v67, v21, v20
	s_delay_alu instid0(VALU_DEP_4) | instskip(NEXT) | instid1(VALU_DEP_4)
	v_sub_f16_e32 v13, v23, v12
	v_sub_f16_e32 v70, v14, v25
	s_delay_alu instid0(VALU_DEP_4) | instskip(NEXT) | instid1(VALU_DEP_4)
	v_fma_f16 v12, v19, 2.0, -v28
	v_fma_f16 v75, v21, 2.0, -v67
	v_pack_b32_f16 v21, v28, v67
	v_fma_f16 v19, v23, 2.0, -v13
	v_fma_f16 v20, v14, 2.0, -v70
	v_lshl_add_u32 v14, v47, 2, v49
	v_pack_b32_f16 v23, v13, v70
	v_pack_b32_f16 v22, v12, v75
	s_delay_alu instid0(VALU_DEP_4)
	v_pack_b32_f16 v25, v19, v20
	ds_store_2addr_b32 v14, v23, v21 offset0:34 offset1:51
	ds_store_2addr_b32 v14, v25, v22 offset1:17
	global_wb scope:SCOPE_SE
	s_wait_dscnt 0x0
	s_barrier_signal -1
	s_barrier_wait -1
	global_inv scope:SCOPE_SE
	s_and_saveexec_b32 s2, vcc_lo
	s_cbranch_execz .LBB0_9
; %bb.8:
	global_load_b32 v21, v31, s[8:9] offset:272
	s_add_nc_u64 s[0:1], s[8:9], 0x110
	s_clause 0xf
	global_load_b32 v23, v31, s[0:1] offset:16
	global_load_b32 v25, v31, s[0:1] offset:32
	;; [unrolled: 1-line block ×16, first 2 shown]
	ds_load_b32 v22, v48
	s_wait_dscnt 0x0
	v_lshrrev_b32_e32 v64, 16, v22
	s_wait_loadcnt 0xf
	v_lshrrev_b32_e32 v94, 16, v23
	s_wait_loadcnt 0xe
	;; [unrolled: 2-line block ×12, first 2 shown]
	v_lshrrev_b32_e32 v105, 16, v89
	v_lshrrev_b32_e32 v65, 16, v21
	s_wait_loadcnt 0x3
	v_lshrrev_b32_e32 v106, 16, v90
	s_wait_loadcnt 0x2
	;; [unrolled: 2-line block ×4, first 2 shown]
	v_lshrrev_b32_e32 v109, 16, v93
	v_mul_f16_e32 v68, v64, v65
	v_mul_f16_e32 v65, v22, v65
	s_delay_alu instid0(VALU_DEP_2) | instskip(NEXT) | instid1(VALU_DEP_2)
	v_fma_f16 v22, v22, v21, -v68
	v_fmac_f16_e32 v65, v64, v21
	s_delay_alu instid0(VALU_DEP_1)
	v_pack_b32_f16 v21, v22, v65
	ds_store_b32 v48, v21
	ds_load_2addr_b32 v[21:22], v14 offset0:4 offset1:8
	ds_load_2addr_b32 v[64:65], v14 offset0:12 offset1:16
	;; [unrolled: 1-line block ×8, first 2 shown]
	s_wait_dscnt 0x7
	v_lshrrev_b32_e32 v110, 16, v21
	v_lshrrev_b32_e32 v112, 16, v22
	s_wait_dscnt 0x6
	v_lshrrev_b32_e32 v114, 16, v64
	v_lshrrev_b32_e32 v116, 16, v65
	;; [unrolled: 3-line block ×5, first 2 shown]
	v_mul_f16_e32 v111, v21, v94
	v_mul_f16_e32 v113, v22, v95
	s_wait_dscnt 0x2
	v_lshrrev_b32_e32 v130, 16, v76
	v_lshrrev_b32_e32 v132, 16, v77
	s_wait_dscnt 0x1
	v_lshrrev_b32_e32 v134, 16, v78
	v_lshrrev_b32_e32 v136, 16, v79
	;; [unrolled: 3-line block ×3, first 2 shown]
	v_mul_f16_e32 v94, v110, v94
	v_mul_f16_e32 v95, v112, v95
	v_mul_f16_e32 v115, v64, v96
	v_mul_f16_e32 v117, v65, v97
	v_mul_f16_e32 v96, v114, v96
	v_mul_f16_e32 v97, v116, v97
	v_mul_f16_e32 v119, v68, v98
	v_mul_f16_e32 v121, v69, v99
	v_mul_f16_e32 v98, v118, v98
	v_mul_f16_e32 v99, v120, v99
	v_mul_f16_e32 v123, v71, v100
	v_mul_f16_e32 v125, v72, v101
	v_mul_f16_e32 v100, v122, v100
	v_mul_f16_e32 v101, v124, v101
	v_mul_f16_e32 v127, v73, v102
	v_mul_f16_e64 v129, v74, v103
	v_mul_f16_e32 v102, v126, v102
	v_mul_f16_e64 v103, v128, v103
	v_mul_f16_e64 v131, v76, v104
	v_mul_f16_e64 v133, v77, v105
	v_mul_f16_e64 v135, v78, v106
	v_mul_f16_e64 v137, v79, v107
	v_mul_f16_e64 v139, v80, v108
	v_mul_f16_e64 v141, v81, v109
	v_fmac_f16_e32 v111, v110, v23
	v_fmac_f16_e32 v113, v112, v25
	v_mul_f16_e64 v104, v130, v104
	v_mul_f16_e64 v105, v132, v105
	;; [unrolled: 1-line block ×6, first 2 shown]
	v_fma_f16 v21, v21, v23, -v94
	v_fma_f16 v22, v22, v25, -v95
	v_fmac_f16_e32 v115, v114, v27
	v_fmac_f16_e32 v117, v116, v66
	v_fma_f16 v23, v64, v27, -v96
	v_fma_f16 v25, v65, v66, -v97
	v_fmac_f16_e32 v119, v118, v82
	v_fmac_f16_e32 v121, v120, v83
	;; [unrolled: 4-line block ×3, first 2 shown]
	v_fma_f16 v65, v71, v84, -v100
	v_fma_f16 v66, v72, v85, -v101
	v_fmac_f16_e32 v127, v126, v86
	v_fmac_f16_e64 v129, v128, v87
	v_fma_f16 v68, v73, v86, -v102
	v_fma_f16 v69, v74, v87, -v103
	v_fmac_f16_e64 v131, v130, v88
	v_fmac_f16_e64 v133, v132, v89
	;; [unrolled: 1-line block ×6, first 2 shown]
	v_fma_f16 v71, v76, v88, -v104
	v_fma_f16 v72, v77, v89, -v105
	;; [unrolled: 1-line block ×6, first 2 shown]
	v_pack_b32_f16 v21, v21, v111
	v_pack_b32_f16 v22, v22, v113
	;; [unrolled: 1-line block ×16, first 2 shown]
	ds_store_2addr_b32 v14, v21, v22 offset0:4 offset1:8
	ds_store_2addr_b32 v14, v23, v25 offset0:12 offset1:16
	;; [unrolled: 1-line block ×8, first 2 shown]
.LBB0_9:
	s_wait_alu 0xfffe
	s_or_b32 exec_lo, exec_lo, s2
	v_lshrrev_b32_e32 v23, 16, v63
	global_wb scope:SCOPE_SE
	s_wait_dscnt 0x0
	s_barrier_signal -1
	s_barrier_wait -1
	global_inv scope:SCOPE_SE
	s_and_saveexec_b32 s0, vcc_lo
	s_cbranch_execz .LBB0_11
; %bb.10:
	ds_load_b32 v19, v48
	ds_load_2addr_b32 v[12:13], v14 offset0:4 offset1:8
	ds_load_2addr_b32 v[28:29], v14 offset0:12 offset1:16
	;; [unrolled: 1-line block ×8, first 2 shown]
	s_wait_dscnt 0x8
	v_lshrrev_b32_e32 v20, 16, v19
	s_wait_dscnt 0x7
	v_lshrrev_b32_e32 v75, 16, v12
	v_lshrrev_b32_e32 v70, 16, v13
	s_wait_dscnt 0x6
	v_lshrrev_b32_e32 v67, 16, v28
	;; [unrolled: 3-line block ×8, first 2 shown]
	v_alignbit_b32 v57, v27, v5, 16
.LBB0_11:
	s_wait_alu 0xfffe
	s_or_b32 exec_lo, exec_lo, s0
	global_wb scope:SCOPE_SE
	s_barrier_signal -1
	s_barrier_wait -1
	global_inv scope:SCOPE_SE
	s_and_saveexec_b32 s0, vcc_lo
	s_cbranch_execz .LBB0_13
; %bb.12:
	v_add_f16_e64 v172, v57, v75
	v_sub_f16_e32 v66, v12, v5
	v_add_f16_e64 v169, v51, v70
	v_sub_f16_e32 v65, v13, v4
	v_add_f16_e64 v163, v52, v67
	v_mul_f16_e64 v92, 0xbbdd, v172
	v_sub_f16_e32 v22, v28, v7
	v_mul_f16_e64 v93, 0x3b76, v169
	v_add_f16_e64 v161, v53, v56
	v_mul_f16_e64 v94, 0xbacd, v163
	v_fmamk_f16 v27, v66, 0x31e1, v92
	v_sub_f16_e32 v21, v29, v6
	v_fmamk_f16 v64, v65, 0xb5c8, v93
	v_add_f16_e64 v152, v54, v59
	v_mul_f16_e64 v95, 0x39e9, v161
	v_add_f16_e32 v68, v20, v27
	v_fmamk_f16 v69, v22, 0x3836, v94
	v_sub_f16_e32 v25, v10, v9
	v_sub_f16_e64 v154, v11, v8
	v_sub_f16_e64 v162, v75, v57
	v_add_f16_e32 v68, v64, v68
	v_mul_f16_e64 v101, 0xb8d2, v152
	v_fmamk_f16 v71, v21, 0xb964, v95
	v_add_f16_e32 v27, v58, v55
	v_mul_f16_e64 v98, 0x3b29, v154
	v_add_f16_e32 v69, v69, v68
	v_add_f16_e32 v68, v5, v12
	v_mul_f16_e64 v96, 0xb1e1, v162
	v_fmamk_f16 v72, v25, 0x3a62, v101
	v_sub_f16_e64 v165, v70, v51
	v_add_f16_e32 v71, v71, v69
	v_add_f16_e32 v69, v4, v13
	v_fma_f16 v73, v27, 0x3722, -v98
	v_fmamk_f16 v74, v68, 0xbbdd, v96
	v_mul_f16_e64 v91, 0x35c8, v165
	v_add_f16_e32 v71, v72, v71
	v_sub_f16_e64 v168, v67, v52
	v_sub_f16_e64 v170, v56, v53
	v_add_f16_e32 v72, v19, v74
	v_sub_f16_e64 v173, v26, v24
	v_add_f16_e32 v78, v73, v71
	v_fmamk_f16 v71, v69, 0x3b76, v91
	v_add_f16_e32 v73, v7, v28
	v_mul_f16_e64 v87, 0xb836, v168
	v_lshrrev_b32_e32 v185, 16, v57
	v_add_f16_e32 v74, v6, v29
	v_add_f16_e32 v71, v71, v72
	v_mul_f16_e64 v88, 0x3964, v170
	v_fmamk_f16 v72, v73, 0xbacd, v87
	v_sub_f16_e64 v148, v59, v54
	v_add_f16_e32 v64, v61, v60
	v_mul_f16_e64 v97, 0xbbb2, v173
	v_sub_f16_e64 v176, v185, v23
	v_add_f16_e32 v72, v72, v71
	v_fmamk_f16 v77, v74, 0x39e9, v88
	v_add_f16_e32 v76, v9, v10
	v_mul_f16_e64 v89, 0xba62, v148
	v_sub_f16_e64 v155, v58, v55
	v_fma_f16 v79, v64, 0xb461, -v97
	v_add_f16_e32 v71, v63, v62
	v_mul_f16_e64 v106, 0x3bf7, v176
	v_add_f16_e32 v72, v77, v72
	v_fmamk_f16 v80, v76, 0xb8d2, v89
	v_add_f16_e32 v77, v11, v8
	v_mul_f16_e64 v90, 0x3b29, v155
	v_mul_f16_e64 v118, 0xbacd, v172
	v_add_f16_e32 v78, v79, v78
	v_fma_f16 v79, v71, 0x2de8, -v106
	v_add_f16_e32 v80, v80, v72
	v_fmamk_f16 v81, v77, 0x3722, v90
	v_fmamk_f16 v82, v66, 0x3836, v118
	v_mul_f16_e64 v107, 0x3722, v169
	v_add_f16_e32 v72, v79, v78
	v_sub_f16_e64 v174, v61, v60
	v_add_f16_e32 v80, v81, v80
	v_add_f16_e32 v78, v20, v82
	v_fmamk_f16 v81, v65, 0xbb29, v107
	v_mul_f16_e64 v108, 0x2de8, v163
	v_add_f16_e32 v79, v26, v24
	v_mul_f16_e64 v99, 0xbbb2, v174
	v_sub_f16_e64 v175, v63, v62
	v_add_f16_e32 v81, v81, v78
	v_fmamk_f16 v82, v22, 0x3bf7, v108
	v_mul_f16_e64 v109, 0xb8d2, v161
	v_fmamk_f16 v83, v79, 0xb461, v99
	v_add_f16_e64 v78, v185, v23
	v_mul_f16_e64 v100, 0x3bf7, v175
	v_add_f16_e32 v81, v82, v81
	v_fmamk_f16 v82, v21, 0xba62, v109
	v_mul_f16_e64 v110, 0x3b76, v152
	v_add_f16_e32 v80, v83, v80
	v_fmamk_f16 v83, v78, 0x2de8, v100
	;; [unrolled: 3-line block ×4, first 2 shown]
	v_mul_f16_e64 v123, 0x3b29, v165
	v_add_f16_e32 v81, v82, v81
	v_fma_f16 v82, v27, 0xbbdd, -v116
	v_mul_f16_e64 v117, 0x3964, v173
	v_add_f16_e32 v83, v19, v83
	v_fmamk_f16 v84, v69, 0x3722, v123
	v_mul_f16_e64 v124, 0xbbf7, v168
	v_add_f16_e32 v81, v82, v81
	v_fma_f16 v82, v64, 0x39e9, -v117
	v_mul_f16_e64 v115, 0xbbb2, v176
	v_add_f16_e32 v83, v84, v83
	v_fmamk_f16 v84, v73, 0x2de8, v124
	;; [unrolled: 6-line block ×3, first 2 shown]
	v_mul_f16_e64 v143, 0xb5c8, v148
	v_add_f16_e32 v81, v82, v81
	v_fmamk_f16 v82, v66, 0x3a62, v114
	v_mul_f16_e64 v102, 0xb461, v169
	v_add_f16_e32 v83, v84, v83
	v_fma_f16 v84, 0x3b76, v76, v143
	v_mul_f16_e64 v144, 0xb1e1, v155
	v_add_f16_e32 v82, v20, v82
	v_fmamk_f16 v85, v65, 0xbbb2, v102
	v_mul_f16_e64 v103, 0x3b76, v163
	v_add_f16_e32 v83, v84, v83
	v_fma_f16 v84, 0xbbdd, v77, v144
	;; [unrolled: 6-line block ×3, first 2 shown]
	v_mul_f16_e64 v121, 0xbbb2, v175
	v_add_f16_e32 v82, v85, v82
	v_fmamk_f16 v85, v21, 0x3836, v104
	v_mul_f16_e64 v105, 0x2de8, v152
	v_add_f16_e32 v83, v84, v83
	v_fmamk_f16 v84, v78, 0xb461, v121
	;; [unrolled: 3-line block ×3, first 2 shown]
	v_mul_f16_e64 v111, 0xb964, v154
	v_add_f16_e32 v82, v84, v83
	v_fma_f16 v83, 0xb8d2, v68, v135
	v_mul_f16_e64 v136, 0x3bb2, v165
	v_add_f16_e32 v84, v86, v85
	v_fma_f16 v85, v27, 0x39e9, -v111
	v_mul_f16_e64 v112, 0xb1e1, v173
	v_add_f16_e32 v83, v19, v83
	v_fma_f16 v86, 0xb461, v69, v136
	v_mul_f16_e64 v125, 0xb5c8, v168
	v_add_f16_e32 v84, v85, v84
	v_fma_f16 v85, v64, 0xbbdd, -v112
	v_mul_f16_e64 v113, 0x3b29, v176
	v_add_f16_e32 v83, v86, v83
	v_fmamk_f16 v86, v73, 0x3b76, v125
	v_mul_f16_e64 v126, 0xb836, v170
	v_add_f16_e32 v84, v85, v84
	v_fma_f16 v85, v71, 0x3722, -v113
	v_mul_f16_e64 v156, 0xb461, v172
	v_add_f16_e32 v86, v86, v83
	v_fmamk_f16 v119, v74, 0xbacd, v126
	v_mul_f16_e64 v137, 0x3bf7, v148
	v_add_f16_e32 v83, v85, v84
	v_fma_f16 v84, 0x3bb2, v66, v156
	v_mul_f16_e64 v157, 0xbacd, v169
	v_add_f16_e32 v85, v119, v86
	v_fma_f16 v86, 0x2de8, v76, v137
	v_mul_f16_e64 v138, 0xb964, v155
	v_add_f16_e32 v84, v20, v84
	v_fma_f16 v119, 0xb836, v65, v157
	v_mul_f16_e64 v158, 0x39e9, v163
	v_add_f16_e32 v85, v86, v85
	v_fma_f16 v86, 0x39e9, v77, v138
	v_mul_f16_e64 v139, 0xb1e1, v174
	v_add_f16_e32 v84, v119, v84
	v_fma_f16 v119, 0xb964, v22, v158
	v_mul_f16_e64 v159, 0x3722, v161
	v_add_f16_e32 v85, v86, v85
	v_fma_f16 v86, 0xbbdd, v79, v139
	v_mul_f16_e64 v140, 0x3b29, v175
	v_add_f16_e32 v84, v119, v84
	v_fma_f16 v119, 0x3b29, v21, v159
	v_mul_f16_e64 v160, 0xbbdd, v152
	v_add_f16_e32 v85, v86, v85
	v_fma_f16 v86, 0x3722, v78, v140
	v_mul_f16_e64 v153, 0xbbb2, v162
	v_add_f16_e32 v119, v119, v84
	v_fma_f16 v120, 0x31e1, v25, v160
	v_mul_f16_e64 v166, 0x3bf7, v154
	v_add_f16_e32 v84, v86, v85
	v_fma_f16 v85, 0xb461, v68, v153
	v_mul_f16_e64 v132, 0x3836, v165
	v_add_f16_e32 v86, v120, v119
	v_fma_f16 v120, v27, 0x2de8, -v166
	v_mul_f16_e64 v141, 0xb5c8, v173
	v_add_f16_e32 v85, v19, v85
	v_fma_f16 v128, 0xbacd, v69, v132
	v_mul_f16_e64 v119, 0x3964, v168
	v_add_f16_e32 v86, v120, v86
	v_fma_f16 v129, v64, 0x3b76, -v141
	v_mul_f16_e64 v142, 0xba62, v176
	v_add_f16_e64 v85, v128, v85
	v_fma_f16 v128, 0x39e9, v73, v119
	v_mul_f16_e64 v120, 0xbb29, v170
	v_add_f16_e64 v86, v129, v86
	v_fma_f16 v129, v71, 0xb8d2, -v142
	v_mul_f16_e64 v171, 0x2de8, v172
	v_add_f16_e64 v130, v128, v85
	v_fma_f16 v131, 0x3722, v74, v120
	v_mul_f16_e64 v128, 0xb1e1, v148
	v_add_f16_e64 v85, v129, v86
	v_fma_f16 v86, 0x3bf7, v66, v171
	;; [unrolled: 3-line block ×3, first 2 shown]
	v_mul_f16_e64 v129, 0x3bf7, v155
	v_add_f16_e32 v86, v20, v86
	v_fma_f16 v133, 0x31e1, v65, v146
	v_mul_f16_e64 v147, 0xb461, v163
	v_add_f16_e64 v131, v131, v130
	v_fma_f16 v134, 0x2de8, v77, v129
	v_mul_f16_e64 v130, 0xb5c8, v174
	v_add_f16_e64 v86, v133, v86
	;; [unrolled: 3-line block ×8, first 2 shown]
	v_fma_f16 v151, v27, 0xbacd, -v164
	v_mul_f16_e64 v167, 0x3a62, v173
	v_add_f16_e64 v134, v19, v134
	v_fma_f16 v180, 0xbbdd, v69, v178
	v_mul_f16_e64 v179, 0x3bb2, v168
	v_add_f16_e64 v133, v151, v133
	v_fma_f16 v181, v64, 0xb8d2, -v167
	v_mul_f16_e64 v151, 0x3722, v172
	v_add_f16_e32 v12, v12, v19
	v_add_f16_e64 v134, v180, v134
	v_fma_f16 v182, 0xb461, v73, v179
	v_mul_f16_e64 v180, 0x35c8, v170
	v_add_f16_e64 v184, v181, v133
	v_fma_f16 v183, 0x3b29, v66, v151
	v_mul_f16_e64 v133, 0xb8d2, v169
	v_add_f16_e32 v12, v13, v12
	v_add_f16_e64 v182, v182, v134
	v_fma_f16 v186, 0x3b76, v74, v180
	v_mul_f16_e64 v181, 0xbb29, v148
	v_add_f16_e64 v183, v20, v183
	v_fma_f16 v187, 0x3a62, v65, v133
	v_mul_f16_e64 v134, 0xbbdd, v163
	v_add_f16_e32 v12, v28, v12
	v_add_f16_e64 v186, v186, v182
	v_fma_f16 v188, 0x3722, v76, v181
	v_add_f16_e64 v187, v187, v183
	v_fma_f16 v189, 0xb1e1, v22, v134
	v_mul_f16_e64 v182, 0xb461, v161
	v_add_f16_e32 v29, v29, v12
	v_mul_f16_e64 v183, 0x3964, v176
	v_add_f16_e64 v186, v188, v186
	v_add_f16_e64 v187, v189, v187
	v_fma_f16 v188, 0xbbb2, v21, v182
	v_mul_f16_e64 v190, 0xb836, v155
	v_mul_f16_e64 v13, 0x39e9, v152
	v_add_f16_e32 v10, v10, v29
	v_fma_f16 v189, v71, 0x39e9, -v183
	v_add_f16_e64 v187, v188, v187
	v_fma_f16 v188, 0xbacd, v77, v190
	v_fma_f16 v191, 0xb964, v25, v13
	v_mul_f16_e64 v28, 0xb5c8, v154
	v_add_f16_e32 v10, v11, v10
	v_add_f16_e64 v12, v189, v184
	v_add_f16_e64 v186, v188, v186
	v_add_f16_e64 v184, v191, v187
	v_fma_f16 v188, v27, 0x3b76, -v28
	v_mul_f16_e64 v187, 0xbb29, v162
	v_add_f16_e32 v10, v26, v10
	v_mul_f16_e64 v195, 0x3a62, v174
	v_mul_f16_e64 v29, 0xbbf7, v173
	v_add_f16_e64 v189, v188, v184
	v_fma_f16 v11, 0x3722, v68, v187
	v_mul_f16_e64 v188, 0xba62, v165
	v_add_f16_e64 v10, v185, v10
	v_fma_f16 v191, 0xb8d2, v79, v195
	v_mul_f16_e64 v184, 0x31e1, v168
	v_add_f16_e32 v26, v19, v11
	v_fma_f16 v194, 0xb8d2, v69, v188
	v_add_f16_e32 v10, v23, v10
	v_fma_f16 v193, v64, 0x2de8, -v29
	v_mul_f16_e64 v192, 0x3964, v175
	v_add_f16_e64 v191, v191, v186
	v_add_f16_e64 v26, v194, v26
	v_fma_f16 v186, 0xbbdd, v73, v184
	v_mul_f16_e64 v185, 0x3bb2, v170
	v_add_f16_e32 v24, v24, v10
	v_mul_f16_e64 v11, 0xb836, v176
	v_add_f16_e64 v23, v193, v189
	v_fma_f16 v189, 0x39e9, v78, v192
	v_add_f16_e64 v26, v186, v26
	v_fma_f16 v193, 0xb461, v74, v185
	v_mul_f16_e64 v186, 0x3964, v148
	v_add_f16_e32 v24, v8, v24
	v_mul_f16_e64 v198, 0x39e9, v172
	v_fma_f16 v194, v71, 0xbacd, -v11
	v_add_f16_e64 v10, v189, v191
	v_add_f16_e64 v26, v193, v26
	v_fma_f16 v189, 0x39e9, v76, v186
	v_mul_f16_e64 v191, 0xb5c8, v155
	v_add_f16_e32 v9, v9, v24
	v_fma_f16 v24, 0x3964, v66, v198
	v_mul_f16_e64 v199, 0x2de8, v169
	v_add_f16_e64 v8, v194, v23
	v_add_f16_e64 v23, v189, v26
	v_fma_f16 v26, 0x3b76, v77, v191
	v_add_f16_e32 v6, v6, v9
	v_mul_f16_e64 v193, 0xbbf7, v174
	v_add_f16_e32 v9, v20, v24
	v_fma_f16 v24, 0x3bf7, v65, v199
	v_mul_f16_e64 v200, 0xb8d2, v163
	v_add_f16_e32 v23, v26, v23
	v_add_f16_e64 v205, v7, v6
	v_fma_f16 v6, 0x2de8, v79, v193
	v_add_f16_e32 v7, v24, v9
	v_fma_f16 v9, 0x3a62, v22, v200
	v_mul_f16_e64 v201, 0xbbdd, v161
	v_mul_f16_e64 v197, 0xb964, v162
	v_add_f16_e64 v206, v6, v23
	v_mul_f16_e64 v202, 0xbacd, v152
	v_add_f16_e32 v6, v9, v7
	v_fma_f16 v7, 0x31e1, v21, v201
	v_fma_f16 v23, 0x39e9, v68, v197
	v_mul_f16_e64 v189, 0xbbf7, v165
	v_mul_f16_e64 v203, 0x3bb2, v154
	;; [unrolled: 1-line block ×3, first 2 shown]
	v_add_f16_e32 v6, v7, v6
	v_fma_f16 v7, 0xb836, v25, v202
	v_add_f16_e32 v24, v19, v23
	v_fma_f16 v26, 0x2de8, v69, v189
	v_mul_f16_e64 v23, 0xba62, v168
	v_mul_f16_e64 v196, 0x3b29, v173
	v_add_f16_e32 v6, v7, v6
	v_fma_f16 v7, v27, 0xb461, -v203
	v_add_f16_e32 v26, v26, v24
	v_fma_f16 v204, 0xb8d2, v73, v23
	v_mul_f16_e64 v24, 0xb1e1, v170
	v_fma_f16 v9, 0xbacd, v78, v194
	v_add_f16_e64 v207, v7, v6
	v_fma_f16 v208, v64, 0x3722, -v196
	v_mul_f16_e64 v6, 0x35c8, v176
	v_add_f16_e64 v209, v204, v26
	v_fma_f16 v210, 0xbbdd, v74, v24
	v_mul_f16_e64 v26, 0x3836, v148
	v_mul_f16_e64 v204, 0x3b76, v172
	v_add_f16_e64 v7, v9, v206
	v_add_f16_e64 v9, v208, v207
	v_fma_f16 v206, v71, 0x3b76, -v6
	v_add_f16_e64 v207, v210, v209
	v_fma_f16 v208, 0x35c8, v66, v204
	v_mul_f16_e64 v172, 0x39e9, v169
	v_fma_f16 v209, 0xbacd, v76, v26
	v_mul_f16_e64 v169, 0x3bb2, v155
	v_add_f16_e64 v9, v206, v9
	v_add_f16_e64 v206, v20, v208
	v_fma_f16 v208, 0x3964, v65, v172
	v_add_f16_e64 v207, v209, v207
	v_mul_f16_e64 v163, 0x3722, v163
	v_add_f16_e64 v209, v75, v20
	v_fma_f16 v210, 0xb461, v77, v169
	v_add_f16_e64 v206, v208, v206
	v_mul_f16_e64 v75, 0x3b29, v174
	v_fma_f16 v208, 0x3b29, v22, v163
	v_add_f16_e64 v209, v70, v209
	v_mul_f16_e64 v70, 0x2de8, v161
	v_add_f16_e64 v161, v210, v207
	v_fma_f16 v207, 0x3722, v79, v75
	v_add_f16_e64 v206, v208, v206
	v_add_f16_e64 v208, v67, v209
	v_fma_f16 v209, 0x3bf7, v21, v70
	v_mul_f16_e64 v152, 0xb461, v152
	v_add_f16_e64 v161, v207, v161
	v_mul_f16_e64 v162, 0xb5c8, v162
	v_add_f16_e64 v207, v56, v208
	v_add_f16_e64 v206, v209, v206
	v_fma_f16 v208, 0x3bb2, v25, v152
	v_mul_f16_e64 v56, 0xba62, v154
	v_mul_f16_e64 v67, 0x35c8, v175
	v_add_f16_e64 v207, v59, v207
	v_mul_f16_e64 v59, 0xb836, v173
	v_add_f16_e64 v206, v208, v206
	v_fma_f16 v208, v27, 0xb8d2, -v56
	v_fma_f16 v173, 0x3b76, v68, v162
	v_add_f16_e64 v58, v58, v207
	v_mul_f16_e64 v165, 0xb964, v165
	v_fma_f16 v154, 0x3b76, v78, v67
	v_add_f16_e64 v206, v208, v206
	v_add_f16_e64 v173, v19, v173
	v_add_f16_e32 v61, v61, v58
	v_fma_f16 v208, 0x39e9, v69, v165
	v_mul_f16_e64 v168, 0xbb29, v168
	v_add_f16_e64 v58, v154, v161
	v_mul_f16_e64 v170, 0xbbf7, v170
	v_add_f16_e32 v63, v63, v61
	v_add_f16_e64 v161, v208, v173
	v_fma_f16 v173, 0x3722, v73, v168
	v_fmac_f16_e32 v92, 0xb1e1, v66
	v_mul_f16_e64 v148, 0xbbb2, v148
	v_add_f16_e32 v62, v62, v63
	v_fmac_f16_e32 v93, 0x35c8, v65
	v_add_f16_e64 v63, v173, v161
	v_fma_f16 v161, 0x2de8, v74, v170
	v_mul_f16_e64 v155, 0xba62, v155
	v_add_f16_e32 v60, v60, v62
	v_add_f16_e32 v62, v20, v92
	v_fma_f16 v92, 0xb461, v76, v148
	v_add_f16_e64 v63, v161, v63
	v_fmac_f16_e32 v94, 0xb836, v22
	v_add_f16_e32 v55, v55, v60
	v_add_f16_e32 v60, v93, v62
	v_fmac_f16_e32 v95, 0x3964, v21
	v_add_f16_e32 v62, v92, v63
	v_fma_f16 v63, 0xb8d2, v77, v155
	v_add_f16_e32 v54, v54, v55
	v_mul_f16_e64 v55, 0xb836, v174
	v_add_f16_e32 v60, v94, v60
	v_add_f16_e64 v4, v4, v205
	v_add_f16_e32 v62, v63, v62
	v_add_f16_e32 v53, v53, v54
	v_fmamk_f16 v54, v79, 0xbacd, v55
	v_mul_f16_e64 v63, 0xb1e1, v175
	v_add_f16_e32 v60, v95, v60
	v_fmac_f16_e32 v101, 0xba62, v25
	v_add_f16_e32 v52, v52, v53
	v_add_f16_e32 v54, v54, v62
	v_fmamk_f16 v53, v78, 0xbbdd, v63
	v_add_f16_e32 v4, v5, v4
	v_fma_f16 v5, v68, 0xbbdd, -v96
	v_add_f16_e32 v51, v51, v52
	v_fmac_f16_e32 v118, 0xb836, v66
	v_add_f16_e32 v60, v101, v60
	v_fmac_f16_e32 v98, 0x3722, v27
	v_add_f16_e32 v53, v53, v54
	v_add_f16_e32 v51, v57, v51
	;; [unrolled: 1-line block ×3, first 2 shown]
	v_fma_f16 v54, v69, 0x3b76, -v91
	v_add_f16_e32 v57, v20, v118
	v_fmac_f16_e32 v107, 0x3b29, v65
	v_add_f16_e32 v52, v98, v60
	v_fma_f16 v60, v68, 0xbacd, -v122
	v_add_f16_e32 v5, v54, v5
	v_fma_f16 v54, v73, 0xbacd, -v87
	v_add_f16_e32 v57, v107, v57
	v_fmac_f16_e32 v108, 0xbbf7, v22
	v_add_f16_e32 v60, v19, v60
	v_fma_f16 v87, v69, 0x3722, -v123
	v_add_f16_e32 v5, v54, v5
	;; [unrolled: 6-line block ×7, first 2 shown]
	v_fmac_f16_e32 v114, 0xba62, v66
	v_add_f16_e32 v54, v115, v57
	v_fma_f16 v57, v68, 0xb8d2, -v135
	v_add_f16_e32 v60, v87, v60
	v_fma_f16 v87, v78, 0xb461, -v121
	v_add_f16_e32 v88, v20, v114
	v_fmac_f16_e32 v102, 0x3bb2, v65
	v_add_f16_e32 v57, v19, v57
	v_fma_f16 v89, v69, 0xb461, -v136
	v_fmac_f16_e64 v156, 0xbbb2, v66
	v_add_f16_e32 v60, v87, v60
	v_add_f16_e32 v87, v102, v88
	v_fma_f16 v88, v73, 0x3b76, -v125
	v_add_f16_e32 v57, v89, v57
	v_add_f16_e64 v89, v20, v156
	v_fmac_f16_e64 v157, 0x3836, v65
	v_fmac_f16_e64 v158, 0x3964, v22
	;; [unrolled: 1-line block ×3, first 2 shown]
	v_add_f16_e32 v57, v88, v57
	v_fma_f16 v88, v74, 0xbacd, -v126
	v_add_f16_e64 v89, v157, v89
	v_fmac_f16_e64 v160, 0xb1e1, v25
	v_fmac_f16_e64 v166, 0x2de8, v27
	v_fma_f16 v207, v64, 0xbacd, -v59
	v_add_f16_e32 v57, v88, v57
	v_fma_f16 v88, v76, 0x2de8, -v137
	v_add_f16_e64 v89, v158, v89
	v_mul_f16_e64 v61, 0xb1e1, v176
	v_fmac_f16_e64 v141, 0x3b76, v64
	v_fma_f16 v90, v68, 0xb461, -v153
	v_add_f16_e32 v57, v88, v57
	v_fma_f16 v88, v77, 0x39e9, -v138
	v_add_f16_e64 v89, v159, v89
	v_fmac_f16_e64 v171, 0xbbf7, v66
	v_add_f16_e64 v154, v207, v206
	v_fma_f16 v92, v71, 0xbbdd, -v61
	v_add_f16_e32 v57, v88, v57
	v_fma_f16 v88, v79, 0xbbdd, -v139
	v_add_f16_e64 v89, v160, v89
	v_add_f16_e64 v91, v20, v171
	v_fmac_f16_e64 v146, 0xb1e1, v65
	v_add_f16_e64 v62, v92, v154
	v_add_f16_e32 v57, v88, v57
	v_fma_f16 v88, v78, 0x3722, -v140
	v_add_f16_e64 v89, v166, v89
	v_fma_f16 v92, v68, 0x2de8, -v177
	v_add_f16_e64 v91, v146, v91
	v_fmac_f16_e64 v147, 0x3bb2, v22
	v_add_f16_e32 v57, v88, v57
	v_add_f16_e64 v88, v141, v89
	v_add_f16_e32 v89, v19, v90
	v_fma_f16 v90, v69, 0xbacd, -v132
	v_add_f16_e32 v92, v19, v92
	v_fma_f16 v93, v69, 0xbbdd, -v178
	v_add_f16_e64 v91, v147, v91
	v_fmac_f16_e64 v149, 0x35c8, v21
	v_add_f16_e32 v89, v90, v89
	v_fma_f16 v90, v73, 0x39e9, -v119
	v_add_f16_e32 v92, v93, v92
	v_fma_f16 v93, v73, 0xb461, -v179
	v_add_f16_e64 v91, v149, v91
	v_fmac_f16_e64 v150, 0xbb29, v25
	;; [unrolled: 6-line block ×5, first 2 shown]
	v_add_f16_e32 v89, v90, v89
	v_fma_f16 v90, v79, 0x3b76, -v130
	v_add_f16_e32 v92, v93, v92
	v_fma_f16 v93, v79, 0xb8d2, -v195
	v_fmac_f16_e64 v151, 0xbb29, v66
	v_fmac_f16_e64 v133, 0xba62, v65
	v_add_f16_e32 v89, v90, v89
	v_fma_f16 v90, v78, 0xb8d2, -v131
	v_add_f16_e32 v92, v93, v92
	v_fma_f16 v93, v78, 0x39e9, -v192
	v_add_f16_e64 v94, v20, v151
	v_fma_f16 v95, v69, 0xb8d2, -v188
	v_add_f16_e32 v89, v90, v89
	v_add_f16_e64 v90, v183, v91
	v_fma_f16 v91, v68, 0x3722, -v187
	v_fmac_f16_e64 v198, 0xb964, v66
	v_add_f16_e32 v92, v93, v92
	v_add_f16_e64 v93, v133, v94
	v_fmac_f16_e64 v134, 0x31e1, v22
	v_add_f16_e32 v91, v19, v91
	v_fma_f16 v94, v73, 0xbbdd, -v184
	v_fmac_f16_e64 v199, 0xbbf7, v65
	v_fmac_f16_e64 v182, 0x3bb2, v21
	v_add_f16_e64 v93, v134, v93
	v_add_f16_e32 v91, v95, v91
	v_add_f16_e64 v95, v20, v198
	v_fmac_f16_e64 v200, 0xba62, v22
	v_fmac_f16_e32 v13, 0x3964, v25
	v_add_f16_e64 v93, v182, v93
	v_add_f16_e32 v91, v94, v91
	v_fma_f16 v94, v74, 0xb461, -v185
	v_add_f16_e64 v95, v199, v95
	v_fmac_f16_e64 v201, 0xb1e1, v21
	v_add_f16_e32 v13, v13, v93
	v_fmac_f16_e32 v28, 0x3b76, v27
	v_add_f16_e32 v91, v94, v91
	v_fma_f16 v94, v76, 0x39e9, -v186
	v_add_f16_e64 v95, v200, v95
	v_fma_f16 v93, v77, 0x3b76, -v191
	v_fmac_f16_e64 v202, 0x3836, v25
	v_add_f16_e32 v13, v28, v13
	v_add_f16_e32 v91, v94, v91
	v_add_f16_e64 v94, v201, v95
	v_fmac_f16_e32 v29, 0x2de8, v64
	v_fmac_f16_e64 v203, 0xb461, v27
	v_fmac_f16_e32 v11, 0xbacd, v71
	v_add_f16_e32 v28, v93, v91
	v_fma_f16 v91, v79, 0x2de8, -v193
	v_add_f16_e64 v93, v202, v94
	v_add_f16_e32 v13, v29, v13
	v_fma_f16 v29, v78, 0xbacd, -v194
	v_fmac_f16_e64 v204, 0xb5c8, v66
	v_add_f16_e32 v28, v91, v28
	v_add_f16_e64 v91, v203, v93
	v_fma_f16 v93, v68, 0x39e9, -v197
	v_fmac_f16_e64 v172, 0xb964, v65
	v_fma_f16 v65, v68, 0x3b76, -v162
	v_add_f16_e32 v11, v11, v13
	v_add_f16_e32 v13, v29, v28
	;; [unrolled: 1-line block ×3, first 2 shown]
	v_fma_f16 v66, v69, 0x2de8, -v189
	v_fmac_f16_e32 v103, 0xb5c8, v22
	v_add_f16_e64 v20, v20, v204
	v_fmac_f16_e64 v163, 0xbb29, v22
	v_add_f16_e32 v19, v19, v65
	v_fma_f16 v22, v69, 0x39e9, -v165
	v_add_f16_e32 v29, v66, v29
	v_fma_f16 v23, v73, 0xb8d2, -v23
	v_fmac_f16_e32 v104, 0xb836, v21
	v_add_f16_e64 v20, v172, v20
	v_fmac_f16_e32 v70, 0xbbf7, v21
	v_add_f16_e32 v19, v22, v19
	v_fma_f16 v21, v73, 0x3722, -v168
	v_add_f16_e32 v23, v23, v29
	v_fma_f16 v24, v74, 0xbbdd, -v24
	v_add_f16_e32 v87, v103, v87
	v_add_f16_e64 v20, v163, v20
	v_add_f16_e32 v19, v21, v19
	v_fma_f16 v21, v74, 0x2de8, -v170
	v_add_f16_e32 v22, v24, v23
	v_fma_f16 v23, v76, 0xbacd, -v26
	v_add_f16_e32 v87, v104, v87
	v_fmac_f16_e32 v105, 0x3bf7, v25
	v_add_f16_e32 v20, v70, v20
	v_fmac_f16_e64 v152, 0xbbb2, v25
	v_add_f16_e32 v19, v21, v19
	v_fma_f16 v21, v76, 0xb461, -v148
	v_add_f16_e32 v22, v23, v22
	v_fma_f16 v23, v77, 0xb461, -v169
	v_add_f16_e32 v87, v105, v87
	v_fmac_f16_e32 v111, 0x39e9, v27
	v_add_f16_e64 v20, v152, v20
	v_fmac_f16_e32 v56, 0xb8d2, v27
	v_add_f16_e32 v19, v21, v19
	v_fma_f16 v21, v77, 0xb8d2, -v155
	v_fmac_f16_e32 v97, 0xb461, v64
	v_add_f16_e32 v22, v23, v22
	v_fma_f16 v23, v79, 0x3722, -v75
	v_add_f16_e32 v87, v111, v87
	v_fmac_f16_e32 v112, 0xbbdd, v64
	v_fmac_f16_e64 v196, 0x3722, v64
	v_add_f16_e32 v20, v56, v20
	v_fmac_f16_e32 v59, 0xbacd, v64
	v_add_f16_e32 v19, v21, v19
	v_fma_f16 v21, v79, 0xbacd, -v55
	v_add_f16_e32 v52, v97, v52
	v_fmac_f16_e32 v106, 0x2de8, v71
	v_add_f16_e32 v22, v23, v22
	v_fma_f16 v23, v78, 0x3b76, -v67
	v_and_b32_e32 v24, 0xffff, v50
	v_add_f16_e32 v87, v112, v87
	v_fmac_f16_e32 v113, 0x3722, v71
	v_fmac_f16_e64 v142, 0xb8d2, v71
	v_add_f16_e64 v28, v196, v91
	v_fmac_f16_e32 v6, 0x3b76, v71
	v_add_f16_e32 v20, v59, v20
	v_fmac_f16_e32 v61, 0xbbdd, v71
	v_add_f16_e32 v19, v21, v19
	v_fma_f16 v21, v78, 0xbbdd, -v63
	v_add_f16_e32 v52, v106, v52
	v_add_f16_e32 v22, v23, v22
	v_lshl_add_u32 v23, v24, 2, v49
	v_pack_b32_f16 v24, v53, v62
	v_pack_b32_f16 v4, v4, v51
	v_add_f16_e32 v87, v113, v87
	v_pack_b32_f16 v7, v7, v8
	v_pack_b32_f16 v8, v58, v9
	v_add_f16_e64 v88, v142, v88
	v_pack_b32_f16 v9, v86, v85
	v_pack_b32_f16 v10, v10, v12
	v_add_f16_e32 v6, v6, v28
	v_pack_b32_f16 v12, v82, v81
	v_pack_b32_f16 v25, v84, v83
	v_add_f16_e32 v20, v61, v20
	v_add_f16_e32 v19, v21, v19
	ds_store_2addr_b32 v23, v4, v24 offset1:1
	ds_store_2addr_b32 v23, v8, v7 offset0:2 offset1:3
	ds_store_2addr_b32 v23, v10, v9 offset0:4 offset1:5
	;; [unrolled: 1-line block ×3, first 2 shown]
	v_pack_b32_f16 v4, v5, v52
	v_pack_b32_f16 v5, v80, v72
	;; [unrolled: 1-line block ×9, first 2 shown]
	ds_store_2addr_b32 v23, v5, v4 offset0:8 offset1:9
	ds_store_2addr_b32 v23, v8, v7 offset0:10 offset1:11
	;; [unrolled: 1-line block ×4, first 2 shown]
	ds_store_b32 v23, v12 offset:64
.LBB0_13:
	s_wait_alu 0xfffe
	s_or_b32 exec_lo, exec_lo, s0
	global_wb scope:SCOPE_SE
	s_wait_dscnt 0x0
	s_barrier_signal -1
	s_barrier_wait -1
	global_inv scope:SCOPE_SE
	ds_load_2addr_b32 v[4:5], v18 offset1:17
	ds_load_2addr_b32 v[6:7], v18 offset0:34 offset1:51
	s_wait_dscnt 0x1
	v_lshrrev_b32_e32 v9, 16, v5
	s_wait_dscnt 0x0
	v_lshrrev_b32_e32 v10, 16, v6
	v_mul_f16_e32 v11, v15, v5
	v_lshrrev_b32_e32 v12, 16, v7
	v_mul_f16_e32 v13, v16, v6
	v_mul_f16_e32 v18, v17, v7
	;; [unrolled: 1-line block ×3, first 2 shown]
	v_fma_f16 v9, v0, v9, -v11
	v_mul_f16_e32 v11, v16, v10
	v_mul_f16_e32 v16, v17, v12
	v_lshrrev_b32_e32 v8, 16, v4
	v_fma_f16 v10, v1, v10, -v13
	v_fma_f16 v12, v2, v12, -v18
	v_fmac_f16_e32 v15, v0, v5
	v_fmac_f16_e32 v11, v1, v6
	;; [unrolled: 1-line block ×3, first 2 shown]
	v_sub_f16_e32 v0, v8, v10
	v_sub_f16_e32 v1, v9, v12
	s_delay_alu instid0(VALU_DEP_4) | instskip(NEXT) | instid1(VALU_DEP_4)
	v_sub_f16_e32 v2, v4, v11
	v_sub_f16_e32 v5, v15, v16
	s_delay_alu instid0(VALU_DEP_4) | instskip(NEXT) | instid1(VALU_DEP_4)
	v_fma_f16 v6, v8, 2.0, -v0
	v_fma_f16 v7, v9, 2.0, -v1
	s_delay_alu instid0(VALU_DEP_4) | instskip(NEXT) | instid1(VALU_DEP_4)
	v_fma_f16 v4, v4, 2.0, -v2
	v_fma_f16 v8, v15, 2.0, -v5
	v_add_f16_e32 v1, v2, v1
	v_sub_f16_e32 v5, v0, v5
	v_sub_f16_e32 v7, v6, v7
	s_delay_alu instid0(VALU_DEP_4) | instskip(NEXT) | instid1(VALU_DEP_4)
	v_sub_f16_e32 v8, v4, v8
	v_fma_f16 v2, v2, 2.0, -v1
	s_delay_alu instid0(VALU_DEP_4) | instskip(NEXT) | instid1(VALU_DEP_4)
	v_fma_f16 v0, v0, 2.0, -v5
	v_fma_f16 v6, v6, 2.0, -v7
	v_pack_b32_f16 v1, v1, v5
	v_fma_f16 v4, v4, 2.0, -v8
	s_delay_alu instid0(VALU_DEP_4) | instskip(SKIP_1) | instid1(VALU_DEP_3)
	v_pack_b32_f16 v0, v2, v0
	v_pack_b32_f16 v2, v8, v7
	;; [unrolled: 1-line block ×3, first 2 shown]
	ds_store_2addr_b32 v14, v2, v1 offset0:34 offset1:51
	ds_store_2addr_b32 v14, v4, v0 offset1:17
	global_wb scope:SCOPE_SE
	s_wait_dscnt 0x0
	s_barrier_signal -1
	s_barrier_wait -1
	global_inv scope:SCOPE_SE
	s_and_b32 exec_lo, exec_lo, vcc_lo
	s_cbranch_execz .LBB0_15
; %bb.14:
	global_load_b32 v0, v31, s[8:9]
	ds_load_b32 v1, v48
	s_mov_b32 s10, 0x1e1e1e1e
	s_mov_b32 s11, 0x3f8e1e1e
	v_mad_co_u64_u32 v[6:7], null, s6, v3, 0
	v_mad_co_u64_u32 v[8:9], null, s4, v47, 0
	s_wait_dscnt 0x0
	v_lshrrev_b32_e32 v2, 16, v1
	s_wait_loadcnt 0x0
	v_lshrrev_b32_e32 v4, 16, v0
	s_delay_alu instid0(VALU_DEP_1) | instskip(SKIP_1) | instid1(VALU_DEP_2)
	v_mul_f16_e32 v5, v2, v4
	v_mul_f16_e32 v4, v1, v4
	v_fmac_f16_e32 v5, v1, v0
	s_delay_alu instid0(VALU_DEP_2) | instskip(NEXT) | instid1(VALU_DEP_2)
	v_fma_f16 v0, v0, v2, -v4
	v_cvt_f32_f16_e32 v1, v5
	s_delay_alu instid0(VALU_DEP_2) | instskip(NEXT) | instid1(VALU_DEP_2)
	v_cvt_f32_f16_e32 v2, v0
	v_cvt_f64_f32_e32 v[0:1], v1
	s_delay_alu instid0(VALU_DEP_2) | instskip(SKIP_1) | instid1(VALU_DEP_1)
	v_cvt_f64_f32_e32 v[4:5], v2
	v_mov_b32_e32 v2, v7
	v_mad_co_u64_u32 v[2:3], null, s7, v3, v[2:3]
	s_wait_alu 0xfffe
	s_delay_alu instid0(VALU_DEP_4) | instskip(NEXT) | instid1(VALU_DEP_4)
	v_mul_f64_e32 v[0:1], s[10:11], v[0:1]
	v_mul_f64_e32 v[4:5], s[10:11], v[4:5]
	s_delay_alu instid0(VALU_DEP_2) | instskip(NEXT) | instid1(VALU_DEP_2)
	v_and_or_b32 v0, 0x1ff, v1, v0
	v_and_or_b32 v4, 0x1ff, v5, v4
	v_lshrrev_b32_e32 v7, 8, v1
	v_bfe_u32 v10, v1, 20, 11
	v_lshrrev_b32_e32 v11, 8, v5
	v_cmp_ne_u32_e32 vcc_lo, 0, v0
	v_bfe_u32 v12, v5, 20, 11
	v_mov_b32_e32 v0, v9
	v_sub_nc_u32_e32 v9, 0x3f1, v10
	v_add_nc_u32_e32 v10, 0xfffffc10, v10
	v_cndmask_b32_e64 v13, 0, 1, vcc_lo
	v_cmp_ne_u32_e32 vcc_lo, 0, v4
	v_sub_nc_u32_e32 v15, 0x3f1, v12
	v_med3_i32 v9, v9, 0, 13
	v_add_nc_u32_e32 v12, 0xfffffc10, v12
	v_and_or_b32 v13, 0xffe, v7, v13
	v_mov_b32_e32 v7, v2
	s_wait_alu 0xfffd
	v_cndmask_b32_e64 v4, 0, 1, vcc_lo
	v_med3_i32 v15, v15, 0, 13
	v_lshrrev_b32_e32 v5, 16, v5
	v_or_b32_e32 v16, 0x1000, v13
	s_delay_alu instid0(VALU_DEP_4) | instskip(SKIP_1) | instid1(VALU_DEP_3)
	v_and_or_b32 v11, 0xffe, v11, v4
	v_mad_co_u64_u32 v[3:4], null, s5, v47, v[0:1]
	v_lshrrev_b32_e32 v0, v9, v16
	v_lshrrev_b32_e32 v1, 16, v1
	s_delay_alu instid0(VALU_DEP_4) | instskip(NEXT) | instid1(VALU_DEP_3)
	v_or_b32_e32 v17, 0x1000, v11
	v_dual_mov_b32 v9, v3 :: v_dual_lshlrev_b32 v2, v9, v0
	s_delay_alu instid0(VALU_DEP_2) | instskip(NEXT) | instid1(VALU_DEP_2)
	v_lshrrev_b32_e32 v4, v15, v17
	v_cmp_ne_u32_e32 vcc_lo, v2, v16
	s_delay_alu instid0(VALU_DEP_2) | instskip(SKIP_2) | instid1(VALU_DEP_2)
	v_lshlrev_b32_e32 v3, v15, v4
	s_wait_alu 0xfffd
	v_cndmask_b32_e64 v15, 0, 1, vcc_lo
	v_cmp_ne_u32_e32 vcc_lo, v3, v17
	v_lshlrev_b64_e32 v[2:3], 2, v[6:7]
	v_lshl_or_b32 v6, v10, 12, v13
	s_delay_alu instid0(VALU_DEP_4) | instskip(SKIP_4) | instid1(VALU_DEP_2)
	v_or_b32_e32 v0, v0, v15
	v_lshl_or_b32 v7, v12, 12, v11
	s_wait_alu 0xfffd
	v_cndmask_b32_e64 v16, 0, 1, vcc_lo
	v_cmp_gt_i32_e32 vcc_lo, 1, v10
	v_or_b32_e32 v4, v4, v16
	s_wait_alu 0xfffd
	v_cndmask_b32_e32 v0, v6, v0, vcc_lo
	v_cmp_gt_i32_e32 vcc_lo, 1, v12
	s_wait_alu 0xfffd
	v_cndmask_b32_e32 v4, v7, v4, vcc_lo
	v_cmp_ne_u32_e32 vcc_lo, 0, v13
	s_delay_alu instid0(VALU_DEP_2)
	v_and_b32_e32 v13, 7, v4
	s_wait_alu 0xfffd
	v_cndmask_b32_e64 v6, 0, 1, vcc_lo
	v_cmp_ne_u32_e32 vcc_lo, 0, v11
	v_lshrrev_b32_e32 v4, 2, v4
	v_cmp_lt_i32_e64 s1, 5, v13
	v_cmp_eq_u32_e64 s2, 3, v13
	s_wait_alu 0xfffd
	v_cndmask_b32_e64 v11, 0, 1, vcc_lo
	v_lshl_or_b32 v6, v6, 9, 0x7c00
	s_delay_alu instid0(VALU_DEP_2) | instskip(SKIP_2) | instid1(VALU_DEP_2)
	v_lshl_or_b32 v11, v11, 9, 0x7c00
	v_and_b32_e32 v7, 7, v0
	v_lshrrev_b32_e32 v0, 2, v0
	v_cmp_lt_i32_e32 vcc_lo, 5, v7
	v_cmp_eq_u32_e64 s0, 3, v7
	s_delay_alu instid0(VALU_DEP_1)
	s_or_b32 vcc_lo, s0, vcc_lo
	s_wait_alu 0xfffe
	v_add_co_ci_u32_e32 v0, vcc_lo, 0, v0, vcc_lo
	s_or_b32 vcc_lo, s2, s1
	s_wait_alu 0xfffe
	v_add_co_ci_u32_e32 v4, vcc_lo, 0, v4, vcc_lo
	v_cmp_gt_i32_e32 vcc_lo, 31, v10
	s_wait_alu 0xfffd
	v_cndmask_b32_e32 v0, 0x7c00, v0, vcc_lo
	v_cmp_gt_i32_e32 vcc_lo, 31, v12
	s_wait_alu 0xfffd
	v_cndmask_b32_e32 v4, 0x7c00, v4, vcc_lo
	v_cmp_eq_u32_e32 vcc_lo, 0x40f, v10
	s_wait_alu 0xfffd
	v_cndmask_b32_e32 v0, v0, v6, vcc_lo
	v_cmp_eq_u32_e32 vcc_lo, 0x40f, v12
	v_lshlrev_b64_e32 v[6:7], 2, v[8:9]
	s_delay_alu instid0(VALU_DEP_3)
	v_and_or_b32 v8, 0x8000, v1, v0
	s_wait_alu 0xfffd
	v_cndmask_b32_e32 v4, v4, v11, vcc_lo
	v_add_co_u32 v0, vcc_lo, s12, v2
	s_wait_alu 0xfffd
	v_add_co_ci_u32_e32 v1, vcc_lo, s13, v3, vcc_lo
	s_delay_alu instid0(VALU_DEP_3) | instskip(SKIP_4) | instid1(VALU_DEP_3)
	v_and_or_b32 v4, 0x8000, v5, v4
	v_and_b32_e32 v5, 0xffff, v8
	v_add_co_u32 v2, vcc_lo, v0, v6
	s_wait_alu 0xfffd
	v_add_co_ci_u32_e32 v3, vcc_lo, v1, v7, vcc_lo
	v_lshl_or_b32 v4, v4, 16, v5
	global_store_b32 v[2:3], v4, off
	global_load_b32 v4, v31, s[8:9] offset:16
	ds_load_2addr_b32 v[2:3], v14 offset0:4 offset1:8
	s_wait_dscnt 0x0
	v_lshrrev_b32_e32 v5, 16, v2
	s_wait_loadcnt 0x0
	v_lshrrev_b32_e32 v6, 16, v4
	s_delay_alu instid0(VALU_DEP_1) | instskip(SKIP_1) | instid1(VALU_DEP_2)
	v_mul_f16_e32 v7, v5, v6
	v_mul_f16_e32 v6, v2, v6
	v_fmac_f16_e32 v7, v2, v4
	s_delay_alu instid0(VALU_DEP_2) | instskip(NEXT) | instid1(VALU_DEP_2)
	v_fma_f16 v2, v4, v5, -v6
	v_cvt_f32_f16_e32 v4, v7
	s_delay_alu instid0(VALU_DEP_2) | instskip(NEXT) | instid1(VALU_DEP_2)
	v_cvt_f32_f16_e32 v2, v2
	v_cvt_f64_f32_e32 v[4:5], v4
	s_delay_alu instid0(VALU_DEP_2) | instskip(NEXT) | instid1(VALU_DEP_2)
	v_cvt_f64_f32_e32 v[6:7], v2
	v_mul_f64_e32 v[4:5], s[10:11], v[4:5]
	s_delay_alu instid0(VALU_DEP_2) | instskip(NEXT) | instid1(VALU_DEP_2)
	v_mul_f64_e32 v[6:7], s[10:11], v[6:7]
	v_and_or_b32 v2, 0x1ff, v5, v4
	s_delay_alu instid0(VALU_DEP_2)
	v_and_or_b32 v6, 0x1ff, v7, v6
	v_lshrrev_b32_e32 v4, 8, v5
	v_bfe_u32 v10, v5, 20, 11
	v_lshrrev_b32_e32 v8, 8, v7
	v_cmp_ne_u32_e32 vcc_lo, 0, v2
	v_bfe_u32 v11, v7, 20, 11
	v_lshrrev_b32_e32 v5, 16, v5
	v_sub_nc_u32_e32 v9, 0x3f1, v10
	v_lshrrev_b32_e32 v7, 16, v7
	s_wait_alu 0xfffd
	v_cndmask_b32_e64 v2, 0, 1, vcc_lo
	v_cmp_ne_u32_e32 vcc_lo, 0, v6
	v_sub_nc_u32_e32 v12, 0x3f1, v11
	v_add_nc_u32_e32 v11, 0xfffffc10, v11
	s_delay_alu instid0(VALU_DEP_4)
	v_and_or_b32 v4, 0xffe, v4, v2
	s_wait_alu 0xfffd
	v_cndmask_b32_e64 v6, 0, 1, vcc_lo
	v_med3_i32 v2, v9, 0, 13
	v_med3_i32 v12, v12, 0, 13
	v_or_b32_e32 v13, 0x1000, v4
	s_delay_alu instid0(VALU_DEP_4) | instskip(SKIP_1) | instid1(VALU_DEP_3)
	v_and_or_b32 v6, 0xffe, v8, v6
	v_mad_co_u64_u32 v[8:9], null, s4, v46, 0
	v_lshrrev_b32_e32 v16, v2, v13
	s_delay_alu instid0(VALU_DEP_3) | instskip(NEXT) | instid1(VALU_DEP_2)
	v_or_b32_e32 v15, 0x1000, v6
	v_lshlrev_b32_e32 v18, v2, v16
	s_delay_alu instid0(VALU_DEP_2) | instskip(SKIP_1) | instid1(VALU_DEP_3)
	v_lshrrev_b32_e32 v17, v12, v15
	v_mov_b32_e32 v2, v9
	v_cmp_ne_u32_e32 vcc_lo, v18, v13
	s_delay_alu instid0(VALU_DEP_3) | instskip(SKIP_3) | instid1(VALU_DEP_3)
	v_lshlrev_b32_e32 v9, v12, v17
	v_add_nc_u32_e32 v12, 0xfffffc10, v10
	s_wait_alu 0xfffd
	v_cndmask_b32_e64 v13, 0, 1, vcc_lo
	v_cmp_ne_u32_e32 vcc_lo, v9, v15
	v_mad_co_u64_u32 v[9:10], null, s5, v46, v[2:3]
	v_lshl_or_b32 v2, v12, 12, v4
	s_delay_alu instid0(VALU_DEP_4) | instskip(SKIP_4) | instid1(VALU_DEP_3)
	v_or_b32_e32 v10, v16, v13
	s_wait_alu 0xfffd
	v_cndmask_b32_e64 v15, 0, 1, vcc_lo
	v_cmp_gt_i32_e32 vcc_lo, 1, v12
	v_lshl_or_b32 v13, v11, 12, v6
	v_or_b32_e32 v15, v17, v15
	s_wait_alu 0xfffd
	v_cndmask_b32_e32 v2, v2, v10, vcc_lo
	v_cmp_gt_i32_e32 vcc_lo, 1, v11
	s_wait_alu 0xfffd
	v_cndmask_b32_e32 v10, v13, v15, vcc_lo
	v_cmp_ne_u32_e32 vcc_lo, 0, v4
	v_and_b32_e32 v13, 7, v2
	v_lshrrev_b32_e32 v2, 2, v2
	s_delay_alu instid0(VALU_DEP_4)
	v_and_b32_e32 v15, 7, v10
	s_wait_alu 0xfffd
	v_cndmask_b32_e64 v4, 0, 1, vcc_lo
	v_cmp_ne_u32_e32 vcc_lo, 0, v6
	v_cmp_eq_u32_e64 s0, 3, v13
	v_lshrrev_b32_e32 v10, 2, v10
	v_cmp_lt_i32_e64 s1, 5, v15
	v_cmp_eq_u32_e64 s2, 3, v15
	s_wait_alu 0xfffd
	v_cndmask_b32_e64 v6, 0, 1, vcc_lo
	v_cmp_lt_i32_e32 vcc_lo, 5, v13
	v_lshl_or_b32 v4, v4, 9, 0x7c00
	s_delay_alu instid0(VALU_DEP_3)
	v_lshl_or_b32 v6, v6, 9, 0x7c00
	s_or_b32 vcc_lo, s0, vcc_lo
	s_wait_alu 0xfffe
	v_add_co_ci_u32_e32 v2, vcc_lo, 0, v2, vcc_lo
	s_or_b32 vcc_lo, s2, s1
	s_wait_alu 0xfffe
	v_add_co_ci_u32_e32 v10, vcc_lo, 0, v10, vcc_lo
	v_cmp_gt_i32_e32 vcc_lo, 31, v12
	s_wait_alu 0xfffd
	v_cndmask_b32_e32 v2, 0x7c00, v2, vcc_lo
	v_cmp_gt_i32_e32 vcc_lo, 31, v11
	s_wait_alu 0xfffd
	v_cndmask_b32_e32 v10, 0x7c00, v10, vcc_lo
	v_cmp_eq_u32_e32 vcc_lo, 0x40f, v12
	s_wait_alu 0xfffd
	v_cndmask_b32_e32 v2, v2, v4, vcc_lo
	v_cmp_eq_u32_e32 vcc_lo, 0x40f, v11
	s_delay_alu instid0(VALU_DEP_2) | instskip(SKIP_3) | instid1(VALU_DEP_3)
	v_and_or_b32 v2, 0x8000, v5, v2
	s_wait_alu 0xfffd
	v_cndmask_b32_e32 v6, v10, v6, vcc_lo
	v_lshlrev_b64_e32 v[4:5], 2, v[8:9]
	v_and_b32_e32 v2, 0xffff, v2
	s_delay_alu instid0(VALU_DEP_3) | instskip(NEXT) | instid1(VALU_DEP_3)
	v_and_or_b32 v6, 0x8000, v7, v6
	v_add_co_u32 v4, vcc_lo, v0, v4
	s_wait_alu 0xfffd
	s_delay_alu instid0(VALU_DEP_4) | instskip(NEXT) | instid1(VALU_DEP_3)
	v_add_co_ci_u32_e32 v5, vcc_lo, v1, v5, vcc_lo
	v_lshl_or_b32 v2, v6, 16, v2
	global_store_b32 v[4:5], v2, off
	global_load_b32 v2, v31, s[8:9] offset:32
	v_lshrrev_b32_e32 v4, 16, v3
	s_wait_loadcnt 0x0
	v_lshrrev_b32_e32 v5, 16, v2
	s_delay_alu instid0(VALU_DEP_1) | instskip(SKIP_1) | instid1(VALU_DEP_2)
	v_mul_f16_e32 v6, v4, v5
	v_mul_f16_e32 v5, v3, v5
	v_fmac_f16_e32 v6, v3, v2
	s_delay_alu instid0(VALU_DEP_2) | instskip(NEXT) | instid1(VALU_DEP_2)
	v_fma_f16 v2, v2, v4, -v5
	v_cvt_f32_f16_e32 v3, v6
	s_delay_alu instid0(VALU_DEP_2) | instskip(NEXT) | instid1(VALU_DEP_2)
	v_cvt_f32_f16_e32 v4, v2
	v_cvt_f64_f32_e32 v[2:3], v3
	s_delay_alu instid0(VALU_DEP_2) | instskip(NEXT) | instid1(VALU_DEP_2)
	v_cvt_f64_f32_e32 v[4:5], v4
	v_mul_f64_e32 v[2:3], s[10:11], v[2:3]
	s_delay_alu instid0(VALU_DEP_2) | instskip(NEXT) | instid1(VALU_DEP_2)
	v_mul_f64_e32 v[4:5], s[10:11], v[4:5]
	v_and_or_b32 v2, 0x1ff, v3, v2
	s_delay_alu instid0(VALU_DEP_2)
	v_and_or_b32 v4, 0x1ff, v5, v4
	v_lshrrev_b32_e32 v6, 8, v3
	v_bfe_u32 v8, v3, 20, 11
	v_bfe_u32 v9, v5, 20, 11
	v_cmp_ne_u32_e32 vcc_lo, 0, v2
	v_lshrrev_b32_e32 v7, 8, v5
	v_lshrrev_b32_e32 v5, 16, v5
	v_sub_nc_u32_e32 v10, 0x3f1, v8
	v_sub_nc_u32_e32 v11, 0x3f1, v9
	s_wait_alu 0xfffd
	v_cndmask_b32_e64 v2, 0, 1, vcc_lo
	v_cmp_ne_u32_e32 vcc_lo, 0, v4
	v_add_nc_u32_e32 v9, 0xfffffc10, v9
	s_delay_alu instid0(VALU_DEP_3)
	v_and_or_b32 v12, 0xffe, v6, v2
	s_wait_alu 0xfffd
	v_cndmask_b32_e64 v4, 0, 1, vcc_lo
	v_med3_i32 v2, v10, 0, 13
	v_med3_i32 v10, v11, 0, 13
	v_or_b32_e32 v11, 0x1000, v12
	s_delay_alu instid0(VALU_DEP_4) | instskip(SKIP_1) | instid1(VALU_DEP_3)
	v_and_or_b32 v4, 0xffe, v7, v4
	v_mad_co_u64_u32 v[6:7], null, s4, v45, 0
	v_lshrrev_b32_e32 v15, v2, v11
	s_delay_alu instid0(VALU_DEP_3) | instskip(NEXT) | instid1(VALU_DEP_2)
	v_or_b32_e32 v13, 0x1000, v4
	v_lshlrev_b32_e32 v17, v2, v15
	s_delay_alu instid0(VALU_DEP_2) | instskip(SKIP_1) | instid1(VALU_DEP_3)
	v_lshrrev_b32_e32 v16, v10, v13
	v_mov_b32_e32 v2, v7
	v_cmp_ne_u32_e32 vcc_lo, v17, v11
	s_delay_alu instid0(VALU_DEP_3) | instskip(SKIP_3) | instid1(VALU_DEP_3)
	v_lshlrev_b32_e32 v7, v10, v16
	v_add_nc_u32_e32 v10, 0xfffffc10, v8
	s_wait_alu 0xfffd
	v_cndmask_b32_e64 v11, 0, 1, vcc_lo
	v_cmp_ne_u32_e32 vcc_lo, v7, v13
	v_mad_co_u64_u32 v[7:8], null, s5, v45, v[2:3]
	v_lshl_or_b32 v2, v10, 12, v12
	s_delay_alu instid0(VALU_DEP_4)
	v_or_b32_e32 v8, v15, v11
	s_wait_alu 0xfffd
	v_cndmask_b32_e64 v13, 0, 1, vcc_lo
	v_cmp_gt_i32_e32 vcc_lo, 1, v10
	v_lshl_or_b32 v11, v9, 12, v4
	v_lshrrev_b32_e32 v3, 16, v3
	s_delay_alu instid0(VALU_DEP_4)
	v_or_b32_e32 v13, v16, v13
	s_wait_alu 0xfffd
	v_cndmask_b32_e32 v2, v2, v8, vcc_lo
	v_cmp_gt_i32_e32 vcc_lo, 1, v9
	s_wait_alu 0xfffd
	v_cndmask_b32_e32 v8, v11, v13, vcc_lo
	v_cmp_ne_u32_e32 vcc_lo, 0, v12
	v_and_b32_e32 v12, 7, v2
	v_lshrrev_b32_e32 v2, 2, v2
	s_delay_alu instid0(VALU_DEP_4)
	v_and_b32_e32 v13, 7, v8
	s_wait_alu 0xfffd
	v_cndmask_b32_e64 v11, 0, 1, vcc_lo
	v_cmp_ne_u32_e32 vcc_lo, 0, v4
	v_cmp_eq_u32_e64 s0, 3, v12
	v_lshrrev_b32_e32 v8, 2, v8
	v_cmp_lt_i32_e64 s1, 5, v13
	v_cmp_eq_u32_e64 s2, 3, v13
	s_wait_alu 0xfffd
	v_cndmask_b32_e64 v4, 0, 1, vcc_lo
	v_cmp_lt_i32_e32 vcc_lo, 5, v12
	v_lshl_or_b32 v11, v11, 9, 0x7c00
	s_delay_alu instid0(VALU_DEP_3)
	v_lshl_or_b32 v4, v4, 9, 0x7c00
	s_or_b32 vcc_lo, s0, vcc_lo
	s_wait_alu 0xfffe
	v_add_co_ci_u32_e32 v2, vcc_lo, 0, v2, vcc_lo
	s_or_b32 vcc_lo, s2, s1
	s_wait_alu 0xfffe
	v_add_co_ci_u32_e32 v8, vcc_lo, 0, v8, vcc_lo
	v_cmp_gt_i32_e32 vcc_lo, 31, v10
	s_wait_alu 0xfffd
	v_cndmask_b32_e32 v2, 0x7c00, v2, vcc_lo
	v_cmp_gt_i32_e32 vcc_lo, 31, v9
	s_wait_alu 0xfffd
	v_cndmask_b32_e32 v8, 0x7c00, v8, vcc_lo
	v_cmp_eq_u32_e32 vcc_lo, 0x40f, v10
	s_wait_alu 0xfffd
	v_cndmask_b32_e32 v2, v2, v11, vcc_lo
	v_cmp_eq_u32_e32 vcc_lo, 0x40f, v9
	s_wait_alu 0xfffd
	v_cndmask_b32_e32 v4, v8, v4, vcc_lo
	s_delay_alu instid0(VALU_DEP_3) | instskip(SKIP_1) | instid1(VALU_DEP_3)
	v_and_or_b32 v8, 0x8000, v3, v2
	v_lshlrev_b64_e32 v[2:3], 2, v[6:7]
	v_and_or_b32 v4, 0x8000, v5, v4
	s_delay_alu instid0(VALU_DEP_3) | instskip(NEXT) | instid1(VALU_DEP_3)
	v_and_b32_e32 v5, 0xffff, v8
	v_add_co_u32 v2, vcc_lo, v0, v2
	s_wait_alu 0xfffd
	s_delay_alu instid0(VALU_DEP_4) | instskip(NEXT) | instid1(VALU_DEP_3)
	v_add_co_ci_u32_e32 v3, vcc_lo, v1, v3, vcc_lo
	v_lshl_or_b32 v4, v4, 16, v5
	global_store_b32 v[2:3], v4, off
	global_load_b32 v4, v31, s[8:9] offset:48
	ds_load_2addr_b32 v[2:3], v14 offset0:12 offset1:16
	s_wait_dscnt 0x0
	v_lshrrev_b32_e32 v5, 16, v2
	s_wait_loadcnt 0x0
	v_lshrrev_b32_e32 v6, 16, v4
	s_delay_alu instid0(VALU_DEP_1) | instskip(SKIP_1) | instid1(VALU_DEP_2)
	v_mul_f16_e32 v7, v5, v6
	v_mul_f16_e32 v6, v2, v6
	v_fmac_f16_e32 v7, v2, v4
	s_delay_alu instid0(VALU_DEP_2) | instskip(NEXT) | instid1(VALU_DEP_2)
	v_fma_f16 v2, v4, v5, -v6
	v_cvt_f32_f16_e32 v4, v7
	s_delay_alu instid0(VALU_DEP_2) | instskip(NEXT) | instid1(VALU_DEP_2)
	v_cvt_f32_f16_e32 v2, v2
	v_cvt_f64_f32_e32 v[4:5], v4
	s_delay_alu instid0(VALU_DEP_2) | instskip(NEXT) | instid1(VALU_DEP_2)
	v_cvt_f64_f32_e32 v[6:7], v2
	v_mul_f64_e32 v[4:5], s[10:11], v[4:5]
	s_delay_alu instid0(VALU_DEP_2) | instskip(NEXT) | instid1(VALU_DEP_2)
	v_mul_f64_e32 v[6:7], s[10:11], v[6:7]
	v_and_or_b32 v2, 0x1ff, v5, v4
	s_delay_alu instid0(VALU_DEP_2)
	v_and_or_b32 v6, 0x1ff, v7, v6
	v_lshrrev_b32_e32 v4, 8, v5
	v_bfe_u32 v10, v5, 20, 11
	v_lshrrev_b32_e32 v8, 8, v7
	v_cmp_ne_u32_e32 vcc_lo, 0, v2
	v_bfe_u32 v11, v7, 20, 11
	v_lshrrev_b32_e32 v5, 16, v5
	v_sub_nc_u32_e32 v9, 0x3f1, v10
	v_lshrrev_b32_e32 v7, 16, v7
	s_wait_alu 0xfffd
	v_cndmask_b32_e64 v2, 0, 1, vcc_lo
	v_cmp_ne_u32_e32 vcc_lo, 0, v6
	v_sub_nc_u32_e32 v12, 0x3f1, v11
	v_add_nc_u32_e32 v11, 0xfffffc10, v11
	s_delay_alu instid0(VALU_DEP_4)
	v_and_or_b32 v4, 0xffe, v4, v2
	s_wait_alu 0xfffd
	v_cndmask_b32_e64 v6, 0, 1, vcc_lo
	v_med3_i32 v2, v9, 0, 13
	v_med3_i32 v12, v12, 0, 13
	v_or_b32_e32 v13, 0x1000, v4
	s_delay_alu instid0(VALU_DEP_4) | instskip(SKIP_1) | instid1(VALU_DEP_3)
	v_and_or_b32 v6, 0xffe, v8, v6
	v_mad_co_u64_u32 v[8:9], null, s4, v44, 0
	v_lshrrev_b32_e32 v16, v2, v13
	s_delay_alu instid0(VALU_DEP_3) | instskip(NEXT) | instid1(VALU_DEP_2)
	v_or_b32_e32 v15, 0x1000, v6
	v_lshlrev_b32_e32 v18, v2, v16
	s_delay_alu instid0(VALU_DEP_2) | instskip(SKIP_1) | instid1(VALU_DEP_3)
	v_lshrrev_b32_e32 v17, v12, v15
	v_mov_b32_e32 v2, v9
	v_cmp_ne_u32_e32 vcc_lo, v18, v13
	s_delay_alu instid0(VALU_DEP_3) | instskip(SKIP_3) | instid1(VALU_DEP_3)
	v_lshlrev_b32_e32 v9, v12, v17
	v_add_nc_u32_e32 v12, 0xfffffc10, v10
	s_wait_alu 0xfffd
	v_cndmask_b32_e64 v13, 0, 1, vcc_lo
	v_cmp_ne_u32_e32 vcc_lo, v9, v15
	v_mad_co_u64_u32 v[9:10], null, s5, v44, v[2:3]
	v_lshl_or_b32 v2, v12, 12, v4
	s_delay_alu instid0(VALU_DEP_4) | instskip(SKIP_4) | instid1(VALU_DEP_3)
	v_or_b32_e32 v10, v16, v13
	s_wait_alu 0xfffd
	v_cndmask_b32_e64 v15, 0, 1, vcc_lo
	v_cmp_gt_i32_e32 vcc_lo, 1, v12
	v_lshl_or_b32 v13, v11, 12, v6
	v_or_b32_e32 v15, v17, v15
	s_wait_alu 0xfffd
	v_cndmask_b32_e32 v2, v2, v10, vcc_lo
	v_cmp_gt_i32_e32 vcc_lo, 1, v11
	s_wait_alu 0xfffd
	v_cndmask_b32_e32 v10, v13, v15, vcc_lo
	v_cmp_ne_u32_e32 vcc_lo, 0, v4
	v_and_b32_e32 v13, 7, v2
	v_lshrrev_b32_e32 v2, 2, v2
	s_delay_alu instid0(VALU_DEP_4)
	v_and_b32_e32 v15, 7, v10
	s_wait_alu 0xfffd
	v_cndmask_b32_e64 v4, 0, 1, vcc_lo
	v_cmp_ne_u32_e32 vcc_lo, 0, v6
	v_cmp_eq_u32_e64 s0, 3, v13
	v_lshrrev_b32_e32 v10, 2, v10
	v_cmp_lt_i32_e64 s1, 5, v15
	v_cmp_eq_u32_e64 s2, 3, v15
	s_wait_alu 0xfffd
	v_cndmask_b32_e64 v6, 0, 1, vcc_lo
	v_cmp_lt_i32_e32 vcc_lo, 5, v13
	v_lshl_or_b32 v4, v4, 9, 0x7c00
	s_delay_alu instid0(VALU_DEP_3)
	v_lshl_or_b32 v6, v6, 9, 0x7c00
	s_or_b32 vcc_lo, s0, vcc_lo
	s_wait_alu 0xfffe
	v_add_co_ci_u32_e32 v2, vcc_lo, 0, v2, vcc_lo
	s_or_b32 vcc_lo, s2, s1
	s_wait_alu 0xfffe
	v_add_co_ci_u32_e32 v10, vcc_lo, 0, v10, vcc_lo
	v_cmp_gt_i32_e32 vcc_lo, 31, v12
	s_wait_alu 0xfffd
	v_cndmask_b32_e32 v2, 0x7c00, v2, vcc_lo
	v_cmp_gt_i32_e32 vcc_lo, 31, v11
	s_wait_alu 0xfffd
	v_cndmask_b32_e32 v10, 0x7c00, v10, vcc_lo
	v_cmp_eq_u32_e32 vcc_lo, 0x40f, v12
	s_wait_alu 0xfffd
	v_cndmask_b32_e32 v2, v2, v4, vcc_lo
	v_cmp_eq_u32_e32 vcc_lo, 0x40f, v11
	s_delay_alu instid0(VALU_DEP_2) | instskip(SKIP_3) | instid1(VALU_DEP_3)
	v_and_or_b32 v2, 0x8000, v5, v2
	s_wait_alu 0xfffd
	v_cndmask_b32_e32 v6, v10, v6, vcc_lo
	v_lshlrev_b64_e32 v[4:5], 2, v[8:9]
	v_and_b32_e32 v2, 0xffff, v2
	s_delay_alu instid0(VALU_DEP_3) | instskip(NEXT) | instid1(VALU_DEP_3)
	v_and_or_b32 v6, 0x8000, v7, v6
	v_add_co_u32 v4, vcc_lo, v0, v4
	s_wait_alu 0xfffd
	s_delay_alu instid0(VALU_DEP_4) | instskip(NEXT) | instid1(VALU_DEP_3)
	v_add_co_ci_u32_e32 v5, vcc_lo, v1, v5, vcc_lo
	v_lshl_or_b32 v2, v6, 16, v2
	global_store_b32 v[4:5], v2, off
	global_load_b32 v2, v31, s[8:9] offset:64
	v_lshrrev_b32_e32 v4, 16, v3
	s_wait_loadcnt 0x0
	v_lshrrev_b32_e32 v5, 16, v2
	s_delay_alu instid0(VALU_DEP_1) | instskip(SKIP_1) | instid1(VALU_DEP_2)
	v_mul_f16_e32 v6, v4, v5
	v_mul_f16_e32 v5, v3, v5
	v_fmac_f16_e32 v6, v3, v2
	s_delay_alu instid0(VALU_DEP_2) | instskip(NEXT) | instid1(VALU_DEP_2)
	v_fma_f16 v2, v2, v4, -v5
	v_cvt_f32_f16_e32 v3, v6
	s_delay_alu instid0(VALU_DEP_2) | instskip(NEXT) | instid1(VALU_DEP_2)
	v_cvt_f32_f16_e32 v4, v2
	v_cvt_f64_f32_e32 v[2:3], v3
	s_delay_alu instid0(VALU_DEP_2) | instskip(NEXT) | instid1(VALU_DEP_2)
	v_cvt_f64_f32_e32 v[4:5], v4
	v_mul_f64_e32 v[2:3], s[10:11], v[2:3]
	s_delay_alu instid0(VALU_DEP_2) | instskip(NEXT) | instid1(VALU_DEP_2)
	v_mul_f64_e32 v[4:5], s[10:11], v[4:5]
	v_and_or_b32 v2, 0x1ff, v3, v2
	s_delay_alu instid0(VALU_DEP_2)
	v_and_or_b32 v4, 0x1ff, v5, v4
	v_lshrrev_b32_e32 v6, 8, v3
	v_bfe_u32 v8, v3, 20, 11
	v_bfe_u32 v9, v5, 20, 11
	v_cmp_ne_u32_e32 vcc_lo, 0, v2
	v_lshrrev_b32_e32 v7, 8, v5
	v_lshrrev_b32_e32 v5, 16, v5
	v_sub_nc_u32_e32 v10, 0x3f1, v8
	v_sub_nc_u32_e32 v11, 0x3f1, v9
	s_wait_alu 0xfffd
	v_cndmask_b32_e64 v2, 0, 1, vcc_lo
	v_cmp_ne_u32_e32 vcc_lo, 0, v4
	v_add_nc_u32_e32 v9, 0xfffffc10, v9
	s_delay_alu instid0(VALU_DEP_3)
	v_and_or_b32 v12, 0xffe, v6, v2
	s_wait_alu 0xfffd
	v_cndmask_b32_e64 v4, 0, 1, vcc_lo
	v_med3_i32 v2, v10, 0, 13
	v_med3_i32 v10, v11, 0, 13
	v_or_b32_e32 v11, 0x1000, v12
	s_delay_alu instid0(VALU_DEP_4) | instskip(SKIP_1) | instid1(VALU_DEP_3)
	v_and_or_b32 v4, 0xffe, v7, v4
	v_mad_co_u64_u32 v[6:7], null, s4, v43, 0
	v_lshrrev_b32_e32 v15, v2, v11
	s_delay_alu instid0(VALU_DEP_3) | instskip(NEXT) | instid1(VALU_DEP_2)
	v_or_b32_e32 v13, 0x1000, v4
	v_lshlrev_b32_e32 v17, v2, v15
	s_delay_alu instid0(VALU_DEP_2) | instskip(SKIP_1) | instid1(VALU_DEP_3)
	v_lshrrev_b32_e32 v16, v10, v13
	v_mov_b32_e32 v2, v7
	v_cmp_ne_u32_e32 vcc_lo, v17, v11
	s_delay_alu instid0(VALU_DEP_3) | instskip(SKIP_3) | instid1(VALU_DEP_3)
	v_lshlrev_b32_e32 v7, v10, v16
	v_add_nc_u32_e32 v10, 0xfffffc10, v8
	s_wait_alu 0xfffd
	v_cndmask_b32_e64 v11, 0, 1, vcc_lo
	v_cmp_ne_u32_e32 vcc_lo, v7, v13
	v_mad_co_u64_u32 v[7:8], null, s5, v43, v[2:3]
	v_lshl_or_b32 v2, v10, 12, v12
	s_delay_alu instid0(VALU_DEP_4)
	v_or_b32_e32 v8, v15, v11
	s_wait_alu 0xfffd
	v_cndmask_b32_e64 v13, 0, 1, vcc_lo
	v_cmp_gt_i32_e32 vcc_lo, 1, v10
	v_lshl_or_b32 v11, v9, 12, v4
	v_lshrrev_b32_e32 v3, 16, v3
	s_delay_alu instid0(VALU_DEP_4)
	v_or_b32_e32 v13, v16, v13
	s_wait_alu 0xfffd
	v_cndmask_b32_e32 v2, v2, v8, vcc_lo
	v_cmp_gt_i32_e32 vcc_lo, 1, v9
	s_wait_alu 0xfffd
	v_cndmask_b32_e32 v8, v11, v13, vcc_lo
	v_cmp_ne_u32_e32 vcc_lo, 0, v12
	v_and_b32_e32 v12, 7, v2
	v_lshrrev_b32_e32 v2, 2, v2
	s_delay_alu instid0(VALU_DEP_4)
	v_and_b32_e32 v13, 7, v8
	s_wait_alu 0xfffd
	v_cndmask_b32_e64 v11, 0, 1, vcc_lo
	v_cmp_ne_u32_e32 vcc_lo, 0, v4
	v_cmp_eq_u32_e64 s0, 3, v12
	v_lshrrev_b32_e32 v8, 2, v8
	v_cmp_lt_i32_e64 s1, 5, v13
	v_cmp_eq_u32_e64 s2, 3, v13
	s_wait_alu 0xfffd
	v_cndmask_b32_e64 v4, 0, 1, vcc_lo
	v_cmp_lt_i32_e32 vcc_lo, 5, v12
	v_lshl_or_b32 v11, v11, 9, 0x7c00
	s_delay_alu instid0(VALU_DEP_3)
	v_lshl_or_b32 v4, v4, 9, 0x7c00
	s_or_b32 vcc_lo, s0, vcc_lo
	s_wait_alu 0xfffe
	v_add_co_ci_u32_e32 v2, vcc_lo, 0, v2, vcc_lo
	s_or_b32 vcc_lo, s2, s1
	s_wait_alu 0xfffe
	v_add_co_ci_u32_e32 v8, vcc_lo, 0, v8, vcc_lo
	v_cmp_gt_i32_e32 vcc_lo, 31, v10
	s_wait_alu 0xfffd
	v_cndmask_b32_e32 v2, 0x7c00, v2, vcc_lo
	v_cmp_gt_i32_e32 vcc_lo, 31, v9
	s_wait_alu 0xfffd
	v_cndmask_b32_e32 v8, 0x7c00, v8, vcc_lo
	v_cmp_eq_u32_e32 vcc_lo, 0x40f, v10
	s_wait_alu 0xfffd
	v_cndmask_b32_e32 v2, v2, v11, vcc_lo
	v_cmp_eq_u32_e32 vcc_lo, 0x40f, v9
	s_wait_alu 0xfffd
	v_cndmask_b32_e32 v4, v8, v4, vcc_lo
	s_delay_alu instid0(VALU_DEP_3) | instskip(SKIP_1) | instid1(VALU_DEP_3)
	v_and_or_b32 v8, 0x8000, v3, v2
	v_lshlrev_b64_e32 v[2:3], 2, v[6:7]
	v_and_or_b32 v4, 0x8000, v5, v4
	s_delay_alu instid0(VALU_DEP_3) | instskip(NEXT) | instid1(VALU_DEP_3)
	v_and_b32_e32 v5, 0xffff, v8
	v_add_co_u32 v2, vcc_lo, v0, v2
	s_wait_alu 0xfffd
	s_delay_alu instid0(VALU_DEP_4) | instskip(NEXT) | instid1(VALU_DEP_3)
	v_add_co_ci_u32_e32 v3, vcc_lo, v1, v3, vcc_lo
	v_lshl_or_b32 v4, v4, 16, v5
	global_store_b32 v[2:3], v4, off
	global_load_b32 v4, v31, s[8:9] offset:80
	ds_load_2addr_b32 v[2:3], v14 offset0:20 offset1:24
	s_wait_dscnt 0x0
	v_lshrrev_b32_e32 v5, 16, v2
	s_wait_loadcnt 0x0
	v_lshrrev_b32_e32 v6, 16, v4
	s_delay_alu instid0(VALU_DEP_1) | instskip(SKIP_1) | instid1(VALU_DEP_2)
	v_mul_f16_e32 v7, v5, v6
	v_mul_f16_e32 v6, v2, v6
	v_fmac_f16_e32 v7, v2, v4
	s_delay_alu instid0(VALU_DEP_2) | instskip(NEXT) | instid1(VALU_DEP_2)
	v_fma_f16 v2, v4, v5, -v6
	v_cvt_f32_f16_e32 v4, v7
	s_delay_alu instid0(VALU_DEP_2) | instskip(NEXT) | instid1(VALU_DEP_2)
	v_cvt_f32_f16_e32 v2, v2
	v_cvt_f64_f32_e32 v[4:5], v4
	s_delay_alu instid0(VALU_DEP_2) | instskip(NEXT) | instid1(VALU_DEP_2)
	v_cvt_f64_f32_e32 v[6:7], v2
	v_mul_f64_e32 v[4:5], s[10:11], v[4:5]
	s_delay_alu instid0(VALU_DEP_2) | instskip(NEXT) | instid1(VALU_DEP_2)
	v_mul_f64_e32 v[6:7], s[10:11], v[6:7]
	v_and_or_b32 v2, 0x1ff, v5, v4
	s_delay_alu instid0(VALU_DEP_2)
	v_and_or_b32 v6, 0x1ff, v7, v6
	v_lshrrev_b32_e32 v4, 8, v5
	v_bfe_u32 v10, v5, 20, 11
	v_lshrrev_b32_e32 v8, 8, v7
	v_cmp_ne_u32_e32 vcc_lo, 0, v2
	v_bfe_u32 v11, v7, 20, 11
	v_lshrrev_b32_e32 v5, 16, v5
	v_sub_nc_u32_e32 v9, 0x3f1, v10
	v_lshrrev_b32_e32 v7, 16, v7
	s_wait_alu 0xfffd
	v_cndmask_b32_e64 v2, 0, 1, vcc_lo
	v_cmp_ne_u32_e32 vcc_lo, 0, v6
	v_sub_nc_u32_e32 v12, 0x3f1, v11
	v_add_nc_u32_e32 v11, 0xfffffc10, v11
	s_delay_alu instid0(VALU_DEP_4)
	v_and_or_b32 v4, 0xffe, v4, v2
	s_wait_alu 0xfffd
	v_cndmask_b32_e64 v6, 0, 1, vcc_lo
	v_med3_i32 v2, v9, 0, 13
	v_med3_i32 v12, v12, 0, 13
	v_or_b32_e32 v13, 0x1000, v4
	s_delay_alu instid0(VALU_DEP_4) | instskip(SKIP_1) | instid1(VALU_DEP_3)
	v_and_or_b32 v6, 0xffe, v8, v6
	v_mad_co_u64_u32 v[8:9], null, s4, v42, 0
	v_lshrrev_b32_e32 v16, v2, v13
	s_delay_alu instid0(VALU_DEP_3) | instskip(NEXT) | instid1(VALU_DEP_2)
	v_or_b32_e32 v15, 0x1000, v6
	v_lshlrev_b32_e32 v18, v2, v16
	s_delay_alu instid0(VALU_DEP_2) | instskip(SKIP_1) | instid1(VALU_DEP_3)
	v_lshrrev_b32_e32 v17, v12, v15
	v_mov_b32_e32 v2, v9
	v_cmp_ne_u32_e32 vcc_lo, v18, v13
	s_delay_alu instid0(VALU_DEP_3) | instskip(SKIP_3) | instid1(VALU_DEP_3)
	v_lshlrev_b32_e32 v9, v12, v17
	v_add_nc_u32_e32 v12, 0xfffffc10, v10
	s_wait_alu 0xfffd
	v_cndmask_b32_e64 v13, 0, 1, vcc_lo
	v_cmp_ne_u32_e32 vcc_lo, v9, v15
	v_mad_co_u64_u32 v[9:10], null, s5, v42, v[2:3]
	v_lshl_or_b32 v2, v12, 12, v4
	s_delay_alu instid0(VALU_DEP_4) | instskip(SKIP_4) | instid1(VALU_DEP_3)
	v_or_b32_e32 v10, v16, v13
	s_wait_alu 0xfffd
	v_cndmask_b32_e64 v15, 0, 1, vcc_lo
	v_cmp_gt_i32_e32 vcc_lo, 1, v12
	v_lshl_or_b32 v13, v11, 12, v6
	v_or_b32_e32 v15, v17, v15
	s_wait_alu 0xfffd
	v_cndmask_b32_e32 v2, v2, v10, vcc_lo
	v_cmp_gt_i32_e32 vcc_lo, 1, v11
	s_wait_alu 0xfffd
	v_cndmask_b32_e32 v10, v13, v15, vcc_lo
	v_cmp_ne_u32_e32 vcc_lo, 0, v4
	v_and_b32_e32 v13, 7, v2
	v_lshrrev_b32_e32 v2, 2, v2
	s_delay_alu instid0(VALU_DEP_4)
	v_and_b32_e32 v15, 7, v10
	s_wait_alu 0xfffd
	v_cndmask_b32_e64 v4, 0, 1, vcc_lo
	v_cmp_ne_u32_e32 vcc_lo, 0, v6
	v_cmp_eq_u32_e64 s0, 3, v13
	v_lshrrev_b32_e32 v10, 2, v10
	v_cmp_lt_i32_e64 s1, 5, v15
	v_cmp_eq_u32_e64 s2, 3, v15
	s_wait_alu 0xfffd
	v_cndmask_b32_e64 v6, 0, 1, vcc_lo
	v_cmp_lt_i32_e32 vcc_lo, 5, v13
	v_lshl_or_b32 v4, v4, 9, 0x7c00
	s_delay_alu instid0(VALU_DEP_3)
	v_lshl_or_b32 v6, v6, 9, 0x7c00
	s_or_b32 vcc_lo, s0, vcc_lo
	s_wait_alu 0xfffe
	v_add_co_ci_u32_e32 v2, vcc_lo, 0, v2, vcc_lo
	s_or_b32 vcc_lo, s2, s1
	s_wait_alu 0xfffe
	v_add_co_ci_u32_e32 v10, vcc_lo, 0, v10, vcc_lo
	v_cmp_gt_i32_e32 vcc_lo, 31, v12
	s_wait_alu 0xfffd
	v_cndmask_b32_e32 v2, 0x7c00, v2, vcc_lo
	v_cmp_gt_i32_e32 vcc_lo, 31, v11
	s_wait_alu 0xfffd
	v_cndmask_b32_e32 v10, 0x7c00, v10, vcc_lo
	v_cmp_eq_u32_e32 vcc_lo, 0x40f, v12
	s_wait_alu 0xfffd
	v_cndmask_b32_e32 v2, v2, v4, vcc_lo
	v_cmp_eq_u32_e32 vcc_lo, 0x40f, v11
	s_delay_alu instid0(VALU_DEP_2) | instskip(SKIP_3) | instid1(VALU_DEP_3)
	v_and_or_b32 v2, 0x8000, v5, v2
	s_wait_alu 0xfffd
	v_cndmask_b32_e32 v6, v10, v6, vcc_lo
	v_lshlrev_b64_e32 v[4:5], 2, v[8:9]
	v_and_b32_e32 v2, 0xffff, v2
	s_delay_alu instid0(VALU_DEP_3) | instskip(NEXT) | instid1(VALU_DEP_3)
	v_and_or_b32 v6, 0x8000, v7, v6
	v_add_co_u32 v4, vcc_lo, v0, v4
	s_wait_alu 0xfffd
	s_delay_alu instid0(VALU_DEP_4) | instskip(NEXT) | instid1(VALU_DEP_3)
	v_add_co_ci_u32_e32 v5, vcc_lo, v1, v5, vcc_lo
	v_lshl_or_b32 v2, v6, 16, v2
	global_store_b32 v[4:5], v2, off
	global_load_b32 v2, v31, s[8:9] offset:96
	v_lshrrev_b32_e32 v4, 16, v3
	s_wait_loadcnt 0x0
	v_lshrrev_b32_e32 v5, 16, v2
	s_delay_alu instid0(VALU_DEP_1) | instskip(SKIP_1) | instid1(VALU_DEP_2)
	v_mul_f16_e32 v6, v4, v5
	v_mul_f16_e32 v5, v3, v5
	v_fmac_f16_e32 v6, v3, v2
	s_delay_alu instid0(VALU_DEP_2) | instskip(NEXT) | instid1(VALU_DEP_2)
	v_fma_f16 v2, v2, v4, -v5
	v_cvt_f32_f16_e32 v3, v6
	s_delay_alu instid0(VALU_DEP_2) | instskip(NEXT) | instid1(VALU_DEP_2)
	v_cvt_f32_f16_e32 v4, v2
	v_cvt_f64_f32_e32 v[2:3], v3
	s_delay_alu instid0(VALU_DEP_2) | instskip(NEXT) | instid1(VALU_DEP_2)
	v_cvt_f64_f32_e32 v[4:5], v4
	v_mul_f64_e32 v[2:3], s[10:11], v[2:3]
	s_delay_alu instid0(VALU_DEP_2) | instskip(NEXT) | instid1(VALU_DEP_2)
	v_mul_f64_e32 v[4:5], s[10:11], v[4:5]
	v_and_or_b32 v2, 0x1ff, v3, v2
	s_delay_alu instid0(VALU_DEP_2)
	v_and_or_b32 v4, 0x1ff, v5, v4
	v_lshrrev_b32_e32 v6, 8, v3
	v_bfe_u32 v8, v3, 20, 11
	v_bfe_u32 v9, v5, 20, 11
	v_cmp_ne_u32_e32 vcc_lo, 0, v2
	v_lshrrev_b32_e32 v7, 8, v5
	v_lshrrev_b32_e32 v5, 16, v5
	v_sub_nc_u32_e32 v10, 0x3f1, v8
	v_sub_nc_u32_e32 v11, 0x3f1, v9
	s_wait_alu 0xfffd
	v_cndmask_b32_e64 v2, 0, 1, vcc_lo
	v_cmp_ne_u32_e32 vcc_lo, 0, v4
	v_add_nc_u32_e32 v9, 0xfffffc10, v9
	s_delay_alu instid0(VALU_DEP_3)
	v_and_or_b32 v12, 0xffe, v6, v2
	s_wait_alu 0xfffd
	v_cndmask_b32_e64 v4, 0, 1, vcc_lo
	v_med3_i32 v2, v10, 0, 13
	v_med3_i32 v10, v11, 0, 13
	v_or_b32_e32 v11, 0x1000, v12
	s_delay_alu instid0(VALU_DEP_4) | instskip(SKIP_1) | instid1(VALU_DEP_3)
	v_and_or_b32 v4, 0xffe, v7, v4
	v_mad_co_u64_u32 v[6:7], null, s4, v41, 0
	v_lshrrev_b32_e32 v15, v2, v11
	s_delay_alu instid0(VALU_DEP_3) | instskip(NEXT) | instid1(VALU_DEP_2)
	v_or_b32_e32 v13, 0x1000, v4
	v_lshlrev_b32_e32 v17, v2, v15
	s_delay_alu instid0(VALU_DEP_2) | instskip(SKIP_1) | instid1(VALU_DEP_3)
	v_lshrrev_b32_e32 v16, v10, v13
	v_mov_b32_e32 v2, v7
	v_cmp_ne_u32_e32 vcc_lo, v17, v11
	s_delay_alu instid0(VALU_DEP_3) | instskip(SKIP_3) | instid1(VALU_DEP_3)
	v_lshlrev_b32_e32 v7, v10, v16
	v_add_nc_u32_e32 v10, 0xfffffc10, v8
	s_wait_alu 0xfffd
	v_cndmask_b32_e64 v11, 0, 1, vcc_lo
	v_cmp_ne_u32_e32 vcc_lo, v7, v13
	v_mad_co_u64_u32 v[7:8], null, s5, v41, v[2:3]
	v_lshl_or_b32 v2, v10, 12, v12
	s_delay_alu instid0(VALU_DEP_4)
	v_or_b32_e32 v8, v15, v11
	s_wait_alu 0xfffd
	v_cndmask_b32_e64 v13, 0, 1, vcc_lo
	v_cmp_gt_i32_e32 vcc_lo, 1, v10
	v_lshl_or_b32 v11, v9, 12, v4
	v_lshrrev_b32_e32 v3, 16, v3
	s_delay_alu instid0(VALU_DEP_4)
	v_or_b32_e32 v13, v16, v13
	s_wait_alu 0xfffd
	v_cndmask_b32_e32 v2, v2, v8, vcc_lo
	v_cmp_gt_i32_e32 vcc_lo, 1, v9
	s_wait_alu 0xfffd
	v_cndmask_b32_e32 v8, v11, v13, vcc_lo
	v_cmp_ne_u32_e32 vcc_lo, 0, v12
	v_and_b32_e32 v12, 7, v2
	v_lshrrev_b32_e32 v2, 2, v2
	s_delay_alu instid0(VALU_DEP_4)
	v_and_b32_e32 v13, 7, v8
	s_wait_alu 0xfffd
	v_cndmask_b32_e64 v11, 0, 1, vcc_lo
	v_cmp_ne_u32_e32 vcc_lo, 0, v4
	v_cmp_eq_u32_e64 s0, 3, v12
	v_lshrrev_b32_e32 v8, 2, v8
	v_cmp_lt_i32_e64 s1, 5, v13
	v_cmp_eq_u32_e64 s2, 3, v13
	s_wait_alu 0xfffd
	v_cndmask_b32_e64 v4, 0, 1, vcc_lo
	v_cmp_lt_i32_e32 vcc_lo, 5, v12
	v_lshl_or_b32 v11, v11, 9, 0x7c00
	s_delay_alu instid0(VALU_DEP_3)
	v_lshl_or_b32 v4, v4, 9, 0x7c00
	s_or_b32 vcc_lo, s0, vcc_lo
	s_wait_alu 0xfffe
	v_add_co_ci_u32_e32 v2, vcc_lo, 0, v2, vcc_lo
	s_or_b32 vcc_lo, s2, s1
	s_wait_alu 0xfffe
	v_add_co_ci_u32_e32 v8, vcc_lo, 0, v8, vcc_lo
	v_cmp_gt_i32_e32 vcc_lo, 31, v10
	s_wait_alu 0xfffd
	v_cndmask_b32_e32 v2, 0x7c00, v2, vcc_lo
	v_cmp_gt_i32_e32 vcc_lo, 31, v9
	s_wait_alu 0xfffd
	v_cndmask_b32_e32 v8, 0x7c00, v8, vcc_lo
	v_cmp_eq_u32_e32 vcc_lo, 0x40f, v10
	s_wait_alu 0xfffd
	v_cndmask_b32_e32 v2, v2, v11, vcc_lo
	v_cmp_eq_u32_e32 vcc_lo, 0x40f, v9
	s_wait_alu 0xfffd
	v_cndmask_b32_e32 v4, v8, v4, vcc_lo
	s_delay_alu instid0(VALU_DEP_3) | instskip(SKIP_1) | instid1(VALU_DEP_3)
	v_and_or_b32 v8, 0x8000, v3, v2
	v_lshlrev_b64_e32 v[2:3], 2, v[6:7]
	v_and_or_b32 v4, 0x8000, v5, v4
	s_delay_alu instid0(VALU_DEP_3) | instskip(NEXT) | instid1(VALU_DEP_3)
	v_and_b32_e32 v5, 0xffff, v8
	v_add_co_u32 v2, vcc_lo, v0, v2
	s_wait_alu 0xfffd
	s_delay_alu instid0(VALU_DEP_4) | instskip(NEXT) | instid1(VALU_DEP_3)
	v_add_co_ci_u32_e32 v3, vcc_lo, v1, v3, vcc_lo
	v_lshl_or_b32 v4, v4, 16, v5
	global_store_b32 v[2:3], v4, off
	global_load_b32 v4, v31, s[8:9] offset:112
	ds_load_2addr_b32 v[2:3], v14 offset0:28 offset1:32
	s_wait_dscnt 0x0
	v_lshrrev_b32_e32 v5, 16, v2
	s_wait_loadcnt 0x0
	v_lshrrev_b32_e32 v6, 16, v4
	s_delay_alu instid0(VALU_DEP_1) | instskip(SKIP_1) | instid1(VALU_DEP_2)
	v_mul_f16_e32 v7, v5, v6
	v_mul_f16_e32 v6, v2, v6
	v_fmac_f16_e32 v7, v2, v4
	s_delay_alu instid0(VALU_DEP_2) | instskip(NEXT) | instid1(VALU_DEP_2)
	v_fma_f16 v2, v4, v5, -v6
	v_cvt_f32_f16_e32 v4, v7
	s_delay_alu instid0(VALU_DEP_2) | instskip(NEXT) | instid1(VALU_DEP_2)
	v_cvt_f32_f16_e32 v2, v2
	v_cvt_f64_f32_e32 v[4:5], v4
	s_delay_alu instid0(VALU_DEP_2) | instskip(NEXT) | instid1(VALU_DEP_2)
	v_cvt_f64_f32_e32 v[6:7], v2
	v_mul_f64_e32 v[4:5], s[10:11], v[4:5]
	s_delay_alu instid0(VALU_DEP_2) | instskip(NEXT) | instid1(VALU_DEP_2)
	v_mul_f64_e32 v[6:7], s[10:11], v[6:7]
	v_and_or_b32 v2, 0x1ff, v5, v4
	s_delay_alu instid0(VALU_DEP_2)
	v_and_or_b32 v6, 0x1ff, v7, v6
	v_lshrrev_b32_e32 v4, 8, v5
	v_bfe_u32 v10, v5, 20, 11
	v_lshrrev_b32_e32 v8, 8, v7
	v_cmp_ne_u32_e32 vcc_lo, 0, v2
	v_bfe_u32 v11, v7, 20, 11
	v_lshrrev_b32_e32 v5, 16, v5
	v_sub_nc_u32_e32 v9, 0x3f1, v10
	v_lshrrev_b32_e32 v7, 16, v7
	s_wait_alu 0xfffd
	v_cndmask_b32_e64 v2, 0, 1, vcc_lo
	v_cmp_ne_u32_e32 vcc_lo, 0, v6
	v_sub_nc_u32_e32 v12, 0x3f1, v11
	v_add_nc_u32_e32 v11, 0xfffffc10, v11
	s_delay_alu instid0(VALU_DEP_4)
	v_and_or_b32 v4, 0xffe, v4, v2
	s_wait_alu 0xfffd
	v_cndmask_b32_e64 v6, 0, 1, vcc_lo
	v_med3_i32 v2, v9, 0, 13
	v_med3_i32 v12, v12, 0, 13
	v_or_b32_e32 v13, 0x1000, v4
	s_delay_alu instid0(VALU_DEP_4) | instskip(SKIP_1) | instid1(VALU_DEP_3)
	v_and_or_b32 v6, 0xffe, v8, v6
	v_mad_co_u64_u32 v[8:9], null, s4, v40, 0
	v_lshrrev_b32_e32 v16, v2, v13
	s_delay_alu instid0(VALU_DEP_3) | instskip(NEXT) | instid1(VALU_DEP_2)
	v_or_b32_e32 v15, 0x1000, v6
	v_lshlrev_b32_e32 v18, v2, v16
	s_delay_alu instid0(VALU_DEP_2) | instskip(SKIP_1) | instid1(VALU_DEP_3)
	v_lshrrev_b32_e32 v17, v12, v15
	v_mov_b32_e32 v2, v9
	v_cmp_ne_u32_e32 vcc_lo, v18, v13
	s_delay_alu instid0(VALU_DEP_3) | instskip(SKIP_3) | instid1(VALU_DEP_3)
	v_lshlrev_b32_e32 v9, v12, v17
	v_add_nc_u32_e32 v12, 0xfffffc10, v10
	s_wait_alu 0xfffd
	v_cndmask_b32_e64 v13, 0, 1, vcc_lo
	v_cmp_ne_u32_e32 vcc_lo, v9, v15
	v_mad_co_u64_u32 v[9:10], null, s5, v40, v[2:3]
	v_lshl_or_b32 v2, v12, 12, v4
	s_delay_alu instid0(VALU_DEP_4) | instskip(SKIP_4) | instid1(VALU_DEP_3)
	v_or_b32_e32 v10, v16, v13
	s_wait_alu 0xfffd
	v_cndmask_b32_e64 v15, 0, 1, vcc_lo
	v_cmp_gt_i32_e32 vcc_lo, 1, v12
	v_lshl_or_b32 v13, v11, 12, v6
	v_or_b32_e32 v15, v17, v15
	s_wait_alu 0xfffd
	v_cndmask_b32_e32 v2, v2, v10, vcc_lo
	v_cmp_gt_i32_e32 vcc_lo, 1, v11
	s_wait_alu 0xfffd
	v_cndmask_b32_e32 v10, v13, v15, vcc_lo
	v_cmp_ne_u32_e32 vcc_lo, 0, v4
	v_and_b32_e32 v13, 7, v2
	v_lshrrev_b32_e32 v2, 2, v2
	s_delay_alu instid0(VALU_DEP_4)
	v_and_b32_e32 v15, 7, v10
	s_wait_alu 0xfffd
	v_cndmask_b32_e64 v4, 0, 1, vcc_lo
	v_cmp_ne_u32_e32 vcc_lo, 0, v6
	v_cmp_eq_u32_e64 s0, 3, v13
	v_lshrrev_b32_e32 v10, 2, v10
	v_cmp_lt_i32_e64 s1, 5, v15
	v_cmp_eq_u32_e64 s2, 3, v15
	s_wait_alu 0xfffd
	v_cndmask_b32_e64 v6, 0, 1, vcc_lo
	v_cmp_lt_i32_e32 vcc_lo, 5, v13
	v_lshl_or_b32 v4, v4, 9, 0x7c00
	s_delay_alu instid0(VALU_DEP_3)
	v_lshl_or_b32 v6, v6, 9, 0x7c00
	s_or_b32 vcc_lo, s0, vcc_lo
	s_wait_alu 0xfffe
	v_add_co_ci_u32_e32 v2, vcc_lo, 0, v2, vcc_lo
	s_or_b32 vcc_lo, s2, s1
	s_wait_alu 0xfffe
	v_add_co_ci_u32_e32 v10, vcc_lo, 0, v10, vcc_lo
	v_cmp_gt_i32_e32 vcc_lo, 31, v12
	s_wait_alu 0xfffd
	v_cndmask_b32_e32 v2, 0x7c00, v2, vcc_lo
	v_cmp_gt_i32_e32 vcc_lo, 31, v11
	s_wait_alu 0xfffd
	v_cndmask_b32_e32 v10, 0x7c00, v10, vcc_lo
	v_cmp_eq_u32_e32 vcc_lo, 0x40f, v12
	s_wait_alu 0xfffd
	v_cndmask_b32_e32 v2, v2, v4, vcc_lo
	v_cmp_eq_u32_e32 vcc_lo, 0x40f, v11
	s_delay_alu instid0(VALU_DEP_2) | instskip(SKIP_3) | instid1(VALU_DEP_3)
	v_and_or_b32 v2, 0x8000, v5, v2
	s_wait_alu 0xfffd
	v_cndmask_b32_e32 v6, v10, v6, vcc_lo
	v_lshlrev_b64_e32 v[4:5], 2, v[8:9]
	v_and_b32_e32 v2, 0xffff, v2
	s_delay_alu instid0(VALU_DEP_3) | instskip(NEXT) | instid1(VALU_DEP_3)
	v_and_or_b32 v6, 0x8000, v7, v6
	v_add_co_u32 v4, vcc_lo, v0, v4
	s_wait_alu 0xfffd
	s_delay_alu instid0(VALU_DEP_4) | instskip(NEXT) | instid1(VALU_DEP_3)
	v_add_co_ci_u32_e32 v5, vcc_lo, v1, v5, vcc_lo
	v_lshl_or_b32 v2, v6, 16, v2
	global_store_b32 v[4:5], v2, off
	global_load_b32 v2, v31, s[8:9] offset:128
	v_lshrrev_b32_e32 v4, 16, v3
	s_wait_loadcnt 0x0
	v_lshrrev_b32_e32 v5, 16, v2
	s_delay_alu instid0(VALU_DEP_1) | instskip(SKIP_1) | instid1(VALU_DEP_2)
	v_mul_f16_e32 v6, v4, v5
	v_mul_f16_e32 v5, v3, v5
	v_fmac_f16_e32 v6, v3, v2
	s_delay_alu instid0(VALU_DEP_2) | instskip(NEXT) | instid1(VALU_DEP_2)
	v_fma_f16 v2, v2, v4, -v5
	v_cvt_f32_f16_e32 v3, v6
	s_delay_alu instid0(VALU_DEP_2) | instskip(NEXT) | instid1(VALU_DEP_2)
	v_cvt_f32_f16_e32 v4, v2
	v_cvt_f64_f32_e32 v[2:3], v3
	s_delay_alu instid0(VALU_DEP_2) | instskip(NEXT) | instid1(VALU_DEP_2)
	v_cvt_f64_f32_e32 v[4:5], v4
	v_mul_f64_e32 v[2:3], s[10:11], v[2:3]
	s_delay_alu instid0(VALU_DEP_2) | instskip(NEXT) | instid1(VALU_DEP_2)
	v_mul_f64_e32 v[4:5], s[10:11], v[4:5]
	v_and_or_b32 v2, 0x1ff, v3, v2
	s_delay_alu instid0(VALU_DEP_2)
	v_and_or_b32 v4, 0x1ff, v5, v4
	v_lshrrev_b32_e32 v6, 8, v3
	v_bfe_u32 v8, v3, 20, 11
	v_bfe_u32 v9, v5, 20, 11
	v_cmp_ne_u32_e32 vcc_lo, 0, v2
	v_lshrrev_b32_e32 v7, 8, v5
	v_lshrrev_b32_e32 v5, 16, v5
	v_sub_nc_u32_e32 v10, 0x3f1, v8
	v_sub_nc_u32_e32 v11, 0x3f1, v9
	s_wait_alu 0xfffd
	v_cndmask_b32_e64 v2, 0, 1, vcc_lo
	v_cmp_ne_u32_e32 vcc_lo, 0, v4
	v_add_nc_u32_e32 v9, 0xfffffc10, v9
	s_delay_alu instid0(VALU_DEP_3)
	v_and_or_b32 v12, 0xffe, v6, v2
	s_wait_alu 0xfffd
	v_cndmask_b32_e64 v4, 0, 1, vcc_lo
	v_med3_i32 v2, v10, 0, 13
	v_med3_i32 v10, v11, 0, 13
	v_or_b32_e32 v11, 0x1000, v12
	s_delay_alu instid0(VALU_DEP_4) | instskip(SKIP_1) | instid1(VALU_DEP_3)
	v_and_or_b32 v4, 0xffe, v7, v4
	v_mad_co_u64_u32 v[6:7], null, s4, v39, 0
	v_lshrrev_b32_e32 v15, v2, v11
	s_delay_alu instid0(VALU_DEP_3) | instskip(NEXT) | instid1(VALU_DEP_2)
	v_or_b32_e32 v13, 0x1000, v4
	v_lshlrev_b32_e32 v17, v2, v15
	s_delay_alu instid0(VALU_DEP_2) | instskip(SKIP_1) | instid1(VALU_DEP_3)
	v_lshrrev_b32_e32 v16, v10, v13
	v_mov_b32_e32 v2, v7
	v_cmp_ne_u32_e32 vcc_lo, v17, v11
	s_delay_alu instid0(VALU_DEP_3) | instskip(SKIP_3) | instid1(VALU_DEP_3)
	v_lshlrev_b32_e32 v7, v10, v16
	v_add_nc_u32_e32 v10, 0xfffffc10, v8
	s_wait_alu 0xfffd
	v_cndmask_b32_e64 v11, 0, 1, vcc_lo
	v_cmp_ne_u32_e32 vcc_lo, v7, v13
	v_mad_co_u64_u32 v[7:8], null, s5, v39, v[2:3]
	v_lshl_or_b32 v2, v10, 12, v12
	s_delay_alu instid0(VALU_DEP_4)
	v_or_b32_e32 v8, v15, v11
	s_wait_alu 0xfffd
	v_cndmask_b32_e64 v13, 0, 1, vcc_lo
	v_cmp_gt_i32_e32 vcc_lo, 1, v10
	v_lshl_or_b32 v11, v9, 12, v4
	v_lshrrev_b32_e32 v3, 16, v3
	s_delay_alu instid0(VALU_DEP_4)
	v_or_b32_e32 v13, v16, v13
	s_wait_alu 0xfffd
	v_cndmask_b32_e32 v2, v2, v8, vcc_lo
	v_cmp_gt_i32_e32 vcc_lo, 1, v9
	s_wait_alu 0xfffd
	v_cndmask_b32_e32 v8, v11, v13, vcc_lo
	v_cmp_ne_u32_e32 vcc_lo, 0, v12
	v_and_b32_e32 v12, 7, v2
	v_lshrrev_b32_e32 v2, 2, v2
	s_delay_alu instid0(VALU_DEP_4)
	v_and_b32_e32 v13, 7, v8
	s_wait_alu 0xfffd
	v_cndmask_b32_e64 v11, 0, 1, vcc_lo
	v_cmp_ne_u32_e32 vcc_lo, 0, v4
	v_cmp_eq_u32_e64 s0, 3, v12
	v_lshrrev_b32_e32 v8, 2, v8
	v_cmp_lt_i32_e64 s1, 5, v13
	v_cmp_eq_u32_e64 s2, 3, v13
	s_wait_alu 0xfffd
	v_cndmask_b32_e64 v4, 0, 1, vcc_lo
	v_cmp_lt_i32_e32 vcc_lo, 5, v12
	v_lshl_or_b32 v11, v11, 9, 0x7c00
	s_delay_alu instid0(VALU_DEP_3)
	v_lshl_or_b32 v4, v4, 9, 0x7c00
	s_or_b32 vcc_lo, s0, vcc_lo
	s_wait_alu 0xfffe
	v_add_co_ci_u32_e32 v2, vcc_lo, 0, v2, vcc_lo
	s_or_b32 vcc_lo, s2, s1
	s_wait_alu 0xfffe
	v_add_co_ci_u32_e32 v8, vcc_lo, 0, v8, vcc_lo
	v_cmp_gt_i32_e32 vcc_lo, 31, v10
	s_wait_alu 0xfffd
	v_cndmask_b32_e32 v2, 0x7c00, v2, vcc_lo
	v_cmp_gt_i32_e32 vcc_lo, 31, v9
	s_wait_alu 0xfffd
	v_cndmask_b32_e32 v8, 0x7c00, v8, vcc_lo
	v_cmp_eq_u32_e32 vcc_lo, 0x40f, v10
	s_wait_alu 0xfffd
	v_cndmask_b32_e32 v2, v2, v11, vcc_lo
	v_cmp_eq_u32_e32 vcc_lo, 0x40f, v9
	s_wait_alu 0xfffd
	v_cndmask_b32_e32 v4, v8, v4, vcc_lo
	s_delay_alu instid0(VALU_DEP_3) | instskip(SKIP_1) | instid1(VALU_DEP_3)
	v_and_or_b32 v8, 0x8000, v3, v2
	v_lshlrev_b64_e32 v[2:3], 2, v[6:7]
	v_and_or_b32 v4, 0x8000, v5, v4
	s_delay_alu instid0(VALU_DEP_3) | instskip(NEXT) | instid1(VALU_DEP_3)
	v_and_b32_e32 v5, 0xffff, v8
	v_add_co_u32 v2, vcc_lo, v0, v2
	s_wait_alu 0xfffd
	s_delay_alu instid0(VALU_DEP_4) | instskip(NEXT) | instid1(VALU_DEP_3)
	v_add_co_ci_u32_e32 v3, vcc_lo, v1, v3, vcc_lo
	v_lshl_or_b32 v4, v4, 16, v5
	global_store_b32 v[2:3], v4, off
	global_load_b32 v4, v31, s[8:9] offset:144
	ds_load_2addr_b32 v[2:3], v14 offset0:36 offset1:40
	s_wait_dscnt 0x0
	v_lshrrev_b32_e32 v5, 16, v2
	s_wait_loadcnt 0x0
	v_lshrrev_b32_e32 v6, 16, v4
	s_delay_alu instid0(VALU_DEP_1) | instskip(SKIP_1) | instid1(VALU_DEP_2)
	v_mul_f16_e32 v7, v5, v6
	v_mul_f16_e32 v6, v2, v6
	v_fmac_f16_e32 v7, v2, v4
	s_delay_alu instid0(VALU_DEP_2) | instskip(NEXT) | instid1(VALU_DEP_2)
	v_fma_f16 v2, v4, v5, -v6
	v_cvt_f32_f16_e32 v4, v7
	s_delay_alu instid0(VALU_DEP_2) | instskip(NEXT) | instid1(VALU_DEP_2)
	v_cvt_f32_f16_e32 v2, v2
	v_cvt_f64_f32_e32 v[4:5], v4
	s_delay_alu instid0(VALU_DEP_2) | instskip(NEXT) | instid1(VALU_DEP_2)
	v_cvt_f64_f32_e32 v[6:7], v2
	v_mul_f64_e32 v[4:5], s[10:11], v[4:5]
	s_delay_alu instid0(VALU_DEP_2) | instskip(NEXT) | instid1(VALU_DEP_2)
	v_mul_f64_e32 v[6:7], s[10:11], v[6:7]
	v_and_or_b32 v2, 0x1ff, v5, v4
	s_delay_alu instid0(VALU_DEP_2)
	v_and_or_b32 v6, 0x1ff, v7, v6
	v_lshrrev_b32_e32 v4, 8, v5
	v_bfe_u32 v10, v5, 20, 11
	v_lshrrev_b32_e32 v8, 8, v7
	v_cmp_ne_u32_e32 vcc_lo, 0, v2
	v_bfe_u32 v11, v7, 20, 11
	v_lshrrev_b32_e32 v5, 16, v5
	v_sub_nc_u32_e32 v9, 0x3f1, v10
	v_lshrrev_b32_e32 v7, 16, v7
	s_wait_alu 0xfffd
	v_cndmask_b32_e64 v2, 0, 1, vcc_lo
	v_cmp_ne_u32_e32 vcc_lo, 0, v6
	v_sub_nc_u32_e32 v12, 0x3f1, v11
	v_add_nc_u32_e32 v11, 0xfffffc10, v11
	s_delay_alu instid0(VALU_DEP_4)
	v_and_or_b32 v4, 0xffe, v4, v2
	s_wait_alu 0xfffd
	v_cndmask_b32_e64 v6, 0, 1, vcc_lo
	v_med3_i32 v2, v9, 0, 13
	v_med3_i32 v12, v12, 0, 13
	v_or_b32_e32 v13, 0x1000, v4
	s_delay_alu instid0(VALU_DEP_4) | instskip(SKIP_1) | instid1(VALU_DEP_3)
	v_and_or_b32 v6, 0xffe, v8, v6
	v_mad_co_u64_u32 v[8:9], null, s4, v38, 0
	v_lshrrev_b32_e32 v16, v2, v13
	s_delay_alu instid0(VALU_DEP_3) | instskip(NEXT) | instid1(VALU_DEP_2)
	v_or_b32_e32 v15, 0x1000, v6
	v_lshlrev_b32_e32 v18, v2, v16
	s_delay_alu instid0(VALU_DEP_2) | instskip(SKIP_1) | instid1(VALU_DEP_3)
	v_lshrrev_b32_e32 v17, v12, v15
	v_mov_b32_e32 v2, v9
	v_cmp_ne_u32_e32 vcc_lo, v18, v13
	s_delay_alu instid0(VALU_DEP_3) | instskip(SKIP_3) | instid1(VALU_DEP_3)
	v_lshlrev_b32_e32 v9, v12, v17
	v_add_nc_u32_e32 v12, 0xfffffc10, v10
	s_wait_alu 0xfffd
	v_cndmask_b32_e64 v13, 0, 1, vcc_lo
	v_cmp_ne_u32_e32 vcc_lo, v9, v15
	v_mad_co_u64_u32 v[9:10], null, s5, v38, v[2:3]
	v_lshl_or_b32 v2, v12, 12, v4
	s_delay_alu instid0(VALU_DEP_4) | instskip(SKIP_4) | instid1(VALU_DEP_3)
	v_or_b32_e32 v10, v16, v13
	s_wait_alu 0xfffd
	v_cndmask_b32_e64 v15, 0, 1, vcc_lo
	v_cmp_gt_i32_e32 vcc_lo, 1, v12
	v_lshl_or_b32 v13, v11, 12, v6
	v_or_b32_e32 v15, v17, v15
	s_wait_alu 0xfffd
	v_cndmask_b32_e32 v2, v2, v10, vcc_lo
	v_cmp_gt_i32_e32 vcc_lo, 1, v11
	s_wait_alu 0xfffd
	v_cndmask_b32_e32 v10, v13, v15, vcc_lo
	v_cmp_ne_u32_e32 vcc_lo, 0, v4
	v_and_b32_e32 v13, 7, v2
	v_lshrrev_b32_e32 v2, 2, v2
	s_delay_alu instid0(VALU_DEP_4)
	v_and_b32_e32 v15, 7, v10
	s_wait_alu 0xfffd
	v_cndmask_b32_e64 v4, 0, 1, vcc_lo
	v_cmp_ne_u32_e32 vcc_lo, 0, v6
	v_cmp_eq_u32_e64 s0, 3, v13
	v_lshrrev_b32_e32 v10, 2, v10
	v_cmp_lt_i32_e64 s1, 5, v15
	v_cmp_eq_u32_e64 s2, 3, v15
	s_wait_alu 0xfffd
	v_cndmask_b32_e64 v6, 0, 1, vcc_lo
	v_cmp_lt_i32_e32 vcc_lo, 5, v13
	v_lshl_or_b32 v4, v4, 9, 0x7c00
	s_delay_alu instid0(VALU_DEP_3)
	v_lshl_or_b32 v6, v6, 9, 0x7c00
	s_or_b32 vcc_lo, s0, vcc_lo
	s_wait_alu 0xfffe
	v_add_co_ci_u32_e32 v2, vcc_lo, 0, v2, vcc_lo
	s_or_b32 vcc_lo, s2, s1
	s_wait_alu 0xfffe
	v_add_co_ci_u32_e32 v10, vcc_lo, 0, v10, vcc_lo
	v_cmp_gt_i32_e32 vcc_lo, 31, v12
	s_wait_alu 0xfffd
	v_cndmask_b32_e32 v2, 0x7c00, v2, vcc_lo
	v_cmp_gt_i32_e32 vcc_lo, 31, v11
	s_wait_alu 0xfffd
	v_cndmask_b32_e32 v10, 0x7c00, v10, vcc_lo
	v_cmp_eq_u32_e32 vcc_lo, 0x40f, v12
	s_wait_alu 0xfffd
	v_cndmask_b32_e32 v2, v2, v4, vcc_lo
	v_cmp_eq_u32_e32 vcc_lo, 0x40f, v11
	s_delay_alu instid0(VALU_DEP_2) | instskip(SKIP_3) | instid1(VALU_DEP_3)
	v_and_or_b32 v2, 0x8000, v5, v2
	s_wait_alu 0xfffd
	v_cndmask_b32_e32 v6, v10, v6, vcc_lo
	v_lshlrev_b64_e32 v[4:5], 2, v[8:9]
	v_and_b32_e32 v2, 0xffff, v2
	s_delay_alu instid0(VALU_DEP_3) | instskip(NEXT) | instid1(VALU_DEP_3)
	v_and_or_b32 v6, 0x8000, v7, v6
	v_add_co_u32 v4, vcc_lo, v0, v4
	s_wait_alu 0xfffd
	s_delay_alu instid0(VALU_DEP_4) | instskip(NEXT) | instid1(VALU_DEP_3)
	v_add_co_ci_u32_e32 v5, vcc_lo, v1, v5, vcc_lo
	v_lshl_or_b32 v2, v6, 16, v2
	global_store_b32 v[4:5], v2, off
	global_load_b32 v2, v31, s[8:9] offset:160
	v_lshrrev_b32_e32 v4, 16, v3
	s_wait_loadcnt 0x0
	v_lshrrev_b32_e32 v5, 16, v2
	s_delay_alu instid0(VALU_DEP_1) | instskip(SKIP_1) | instid1(VALU_DEP_2)
	v_mul_f16_e32 v6, v4, v5
	v_mul_f16_e32 v5, v3, v5
	v_fmac_f16_e32 v6, v3, v2
	s_delay_alu instid0(VALU_DEP_2) | instskip(NEXT) | instid1(VALU_DEP_2)
	v_fma_f16 v2, v2, v4, -v5
	v_cvt_f32_f16_e32 v3, v6
	s_delay_alu instid0(VALU_DEP_2) | instskip(NEXT) | instid1(VALU_DEP_2)
	v_cvt_f32_f16_e32 v4, v2
	v_cvt_f64_f32_e32 v[2:3], v3
	s_delay_alu instid0(VALU_DEP_2) | instskip(NEXT) | instid1(VALU_DEP_2)
	v_cvt_f64_f32_e32 v[4:5], v4
	v_mul_f64_e32 v[2:3], s[10:11], v[2:3]
	s_delay_alu instid0(VALU_DEP_2) | instskip(NEXT) | instid1(VALU_DEP_2)
	v_mul_f64_e32 v[4:5], s[10:11], v[4:5]
	v_and_or_b32 v2, 0x1ff, v3, v2
	s_delay_alu instid0(VALU_DEP_2)
	v_and_or_b32 v4, 0x1ff, v5, v4
	v_lshrrev_b32_e32 v6, 8, v3
	v_bfe_u32 v8, v3, 20, 11
	v_bfe_u32 v9, v5, 20, 11
	v_cmp_ne_u32_e32 vcc_lo, 0, v2
	v_lshrrev_b32_e32 v7, 8, v5
	v_lshrrev_b32_e32 v5, 16, v5
	v_sub_nc_u32_e32 v10, 0x3f1, v8
	v_sub_nc_u32_e32 v11, 0x3f1, v9
	s_wait_alu 0xfffd
	v_cndmask_b32_e64 v2, 0, 1, vcc_lo
	v_cmp_ne_u32_e32 vcc_lo, 0, v4
	v_add_nc_u32_e32 v9, 0xfffffc10, v9
	s_delay_alu instid0(VALU_DEP_3)
	v_and_or_b32 v12, 0xffe, v6, v2
	s_wait_alu 0xfffd
	v_cndmask_b32_e64 v4, 0, 1, vcc_lo
	v_med3_i32 v2, v10, 0, 13
	v_med3_i32 v10, v11, 0, 13
	v_or_b32_e32 v11, 0x1000, v12
	s_delay_alu instid0(VALU_DEP_4) | instskip(SKIP_1) | instid1(VALU_DEP_3)
	v_and_or_b32 v4, 0xffe, v7, v4
	v_mad_co_u64_u32 v[6:7], null, s4, v37, 0
	v_lshrrev_b32_e32 v15, v2, v11
	s_delay_alu instid0(VALU_DEP_3) | instskip(NEXT) | instid1(VALU_DEP_2)
	v_or_b32_e32 v13, 0x1000, v4
	v_lshlrev_b32_e32 v17, v2, v15
	s_delay_alu instid0(VALU_DEP_2) | instskip(SKIP_1) | instid1(VALU_DEP_3)
	v_lshrrev_b32_e32 v16, v10, v13
	v_mov_b32_e32 v2, v7
	v_cmp_ne_u32_e32 vcc_lo, v17, v11
	s_delay_alu instid0(VALU_DEP_3) | instskip(SKIP_3) | instid1(VALU_DEP_3)
	v_lshlrev_b32_e32 v7, v10, v16
	v_add_nc_u32_e32 v10, 0xfffffc10, v8
	s_wait_alu 0xfffd
	v_cndmask_b32_e64 v11, 0, 1, vcc_lo
	v_cmp_ne_u32_e32 vcc_lo, v7, v13
	v_mad_co_u64_u32 v[7:8], null, s5, v37, v[2:3]
	v_lshl_or_b32 v2, v10, 12, v12
	s_delay_alu instid0(VALU_DEP_4)
	v_or_b32_e32 v8, v15, v11
	s_wait_alu 0xfffd
	v_cndmask_b32_e64 v13, 0, 1, vcc_lo
	v_cmp_gt_i32_e32 vcc_lo, 1, v10
	v_lshl_or_b32 v11, v9, 12, v4
	v_lshrrev_b32_e32 v3, 16, v3
	s_delay_alu instid0(VALU_DEP_4)
	v_or_b32_e32 v13, v16, v13
	s_wait_alu 0xfffd
	v_cndmask_b32_e32 v2, v2, v8, vcc_lo
	v_cmp_gt_i32_e32 vcc_lo, 1, v9
	s_wait_alu 0xfffd
	v_cndmask_b32_e32 v8, v11, v13, vcc_lo
	v_cmp_ne_u32_e32 vcc_lo, 0, v12
	v_and_b32_e32 v12, 7, v2
	v_lshrrev_b32_e32 v2, 2, v2
	s_delay_alu instid0(VALU_DEP_4)
	v_and_b32_e32 v13, 7, v8
	s_wait_alu 0xfffd
	v_cndmask_b32_e64 v11, 0, 1, vcc_lo
	v_cmp_ne_u32_e32 vcc_lo, 0, v4
	v_cmp_eq_u32_e64 s0, 3, v12
	v_lshrrev_b32_e32 v8, 2, v8
	v_cmp_lt_i32_e64 s1, 5, v13
	v_cmp_eq_u32_e64 s2, 3, v13
	s_wait_alu 0xfffd
	v_cndmask_b32_e64 v4, 0, 1, vcc_lo
	v_cmp_lt_i32_e32 vcc_lo, 5, v12
	v_lshl_or_b32 v11, v11, 9, 0x7c00
	s_delay_alu instid0(VALU_DEP_3)
	v_lshl_or_b32 v4, v4, 9, 0x7c00
	s_or_b32 vcc_lo, s0, vcc_lo
	s_wait_alu 0xfffe
	v_add_co_ci_u32_e32 v2, vcc_lo, 0, v2, vcc_lo
	s_or_b32 vcc_lo, s2, s1
	s_wait_alu 0xfffe
	v_add_co_ci_u32_e32 v8, vcc_lo, 0, v8, vcc_lo
	v_cmp_gt_i32_e32 vcc_lo, 31, v10
	s_wait_alu 0xfffd
	v_cndmask_b32_e32 v2, 0x7c00, v2, vcc_lo
	v_cmp_gt_i32_e32 vcc_lo, 31, v9
	s_wait_alu 0xfffd
	v_cndmask_b32_e32 v8, 0x7c00, v8, vcc_lo
	v_cmp_eq_u32_e32 vcc_lo, 0x40f, v10
	s_wait_alu 0xfffd
	v_cndmask_b32_e32 v2, v2, v11, vcc_lo
	v_cmp_eq_u32_e32 vcc_lo, 0x40f, v9
	s_wait_alu 0xfffd
	v_cndmask_b32_e32 v4, v8, v4, vcc_lo
	s_delay_alu instid0(VALU_DEP_3) | instskip(SKIP_1) | instid1(VALU_DEP_3)
	v_and_or_b32 v8, 0x8000, v3, v2
	v_lshlrev_b64_e32 v[2:3], 2, v[6:7]
	v_and_or_b32 v4, 0x8000, v5, v4
	s_delay_alu instid0(VALU_DEP_3) | instskip(NEXT) | instid1(VALU_DEP_3)
	v_and_b32_e32 v5, 0xffff, v8
	v_add_co_u32 v2, vcc_lo, v0, v2
	s_wait_alu 0xfffd
	s_delay_alu instid0(VALU_DEP_4) | instskip(NEXT) | instid1(VALU_DEP_3)
	v_add_co_ci_u32_e32 v3, vcc_lo, v1, v3, vcc_lo
	v_lshl_or_b32 v4, v4, 16, v5
	global_store_b32 v[2:3], v4, off
	global_load_b32 v4, v31, s[8:9] offset:176
	ds_load_2addr_b32 v[2:3], v14 offset0:44 offset1:48
	s_wait_dscnt 0x0
	v_lshrrev_b32_e32 v5, 16, v2
	s_wait_loadcnt 0x0
	v_lshrrev_b32_e32 v6, 16, v4
	s_delay_alu instid0(VALU_DEP_1) | instskip(SKIP_1) | instid1(VALU_DEP_2)
	v_mul_f16_e32 v7, v5, v6
	v_mul_f16_e32 v6, v2, v6
	v_fmac_f16_e32 v7, v2, v4
	s_delay_alu instid0(VALU_DEP_2) | instskip(NEXT) | instid1(VALU_DEP_2)
	v_fma_f16 v2, v4, v5, -v6
	v_cvt_f32_f16_e32 v4, v7
	s_delay_alu instid0(VALU_DEP_2) | instskip(NEXT) | instid1(VALU_DEP_2)
	v_cvt_f32_f16_e32 v2, v2
	v_cvt_f64_f32_e32 v[4:5], v4
	s_delay_alu instid0(VALU_DEP_2) | instskip(NEXT) | instid1(VALU_DEP_2)
	v_cvt_f64_f32_e32 v[6:7], v2
	v_mul_f64_e32 v[4:5], s[10:11], v[4:5]
	s_delay_alu instid0(VALU_DEP_2) | instskip(NEXT) | instid1(VALU_DEP_2)
	v_mul_f64_e32 v[6:7], s[10:11], v[6:7]
	v_and_or_b32 v2, 0x1ff, v5, v4
	s_delay_alu instid0(VALU_DEP_2)
	v_and_or_b32 v6, 0x1ff, v7, v6
	v_lshrrev_b32_e32 v4, 8, v5
	v_bfe_u32 v10, v5, 20, 11
	v_lshrrev_b32_e32 v8, 8, v7
	v_cmp_ne_u32_e32 vcc_lo, 0, v2
	v_bfe_u32 v11, v7, 20, 11
	v_lshrrev_b32_e32 v5, 16, v5
	v_sub_nc_u32_e32 v9, 0x3f1, v10
	v_lshrrev_b32_e32 v7, 16, v7
	s_wait_alu 0xfffd
	v_cndmask_b32_e64 v2, 0, 1, vcc_lo
	v_cmp_ne_u32_e32 vcc_lo, 0, v6
	v_sub_nc_u32_e32 v12, 0x3f1, v11
	v_add_nc_u32_e32 v11, 0xfffffc10, v11
	s_delay_alu instid0(VALU_DEP_4)
	v_and_or_b32 v4, 0xffe, v4, v2
	s_wait_alu 0xfffd
	v_cndmask_b32_e64 v6, 0, 1, vcc_lo
	v_med3_i32 v2, v9, 0, 13
	v_med3_i32 v12, v12, 0, 13
	v_or_b32_e32 v13, 0x1000, v4
	s_delay_alu instid0(VALU_DEP_4) | instskip(SKIP_1) | instid1(VALU_DEP_3)
	v_and_or_b32 v6, 0xffe, v8, v6
	v_mad_co_u64_u32 v[8:9], null, s4, v36, 0
	v_lshrrev_b32_e32 v16, v2, v13
	s_delay_alu instid0(VALU_DEP_3) | instskip(NEXT) | instid1(VALU_DEP_2)
	v_or_b32_e32 v15, 0x1000, v6
	v_lshlrev_b32_e32 v18, v2, v16
	s_delay_alu instid0(VALU_DEP_2) | instskip(SKIP_1) | instid1(VALU_DEP_3)
	v_lshrrev_b32_e32 v17, v12, v15
	v_mov_b32_e32 v2, v9
	v_cmp_ne_u32_e32 vcc_lo, v18, v13
	s_delay_alu instid0(VALU_DEP_3) | instskip(SKIP_3) | instid1(VALU_DEP_3)
	v_lshlrev_b32_e32 v9, v12, v17
	v_add_nc_u32_e32 v12, 0xfffffc10, v10
	s_wait_alu 0xfffd
	v_cndmask_b32_e64 v13, 0, 1, vcc_lo
	v_cmp_ne_u32_e32 vcc_lo, v9, v15
	v_mad_co_u64_u32 v[9:10], null, s5, v36, v[2:3]
	v_lshl_or_b32 v2, v12, 12, v4
	s_delay_alu instid0(VALU_DEP_4) | instskip(SKIP_4) | instid1(VALU_DEP_3)
	v_or_b32_e32 v10, v16, v13
	s_wait_alu 0xfffd
	v_cndmask_b32_e64 v15, 0, 1, vcc_lo
	v_cmp_gt_i32_e32 vcc_lo, 1, v12
	v_lshl_or_b32 v13, v11, 12, v6
	v_or_b32_e32 v15, v17, v15
	s_wait_alu 0xfffd
	v_cndmask_b32_e32 v2, v2, v10, vcc_lo
	v_cmp_gt_i32_e32 vcc_lo, 1, v11
	s_wait_alu 0xfffd
	v_cndmask_b32_e32 v10, v13, v15, vcc_lo
	v_cmp_ne_u32_e32 vcc_lo, 0, v4
	v_and_b32_e32 v13, 7, v2
	v_lshrrev_b32_e32 v2, 2, v2
	s_delay_alu instid0(VALU_DEP_4)
	v_and_b32_e32 v15, 7, v10
	s_wait_alu 0xfffd
	v_cndmask_b32_e64 v4, 0, 1, vcc_lo
	v_cmp_ne_u32_e32 vcc_lo, 0, v6
	v_cmp_eq_u32_e64 s0, 3, v13
	v_lshrrev_b32_e32 v10, 2, v10
	v_cmp_lt_i32_e64 s1, 5, v15
	v_cmp_eq_u32_e64 s2, 3, v15
	s_wait_alu 0xfffd
	v_cndmask_b32_e64 v6, 0, 1, vcc_lo
	v_cmp_lt_i32_e32 vcc_lo, 5, v13
	v_lshl_or_b32 v4, v4, 9, 0x7c00
	s_delay_alu instid0(VALU_DEP_3)
	v_lshl_or_b32 v6, v6, 9, 0x7c00
	s_or_b32 vcc_lo, s0, vcc_lo
	s_wait_alu 0xfffe
	v_add_co_ci_u32_e32 v2, vcc_lo, 0, v2, vcc_lo
	s_or_b32 vcc_lo, s2, s1
	s_wait_alu 0xfffe
	v_add_co_ci_u32_e32 v10, vcc_lo, 0, v10, vcc_lo
	v_cmp_gt_i32_e32 vcc_lo, 31, v12
	s_wait_alu 0xfffd
	v_cndmask_b32_e32 v2, 0x7c00, v2, vcc_lo
	v_cmp_gt_i32_e32 vcc_lo, 31, v11
	s_wait_alu 0xfffd
	v_cndmask_b32_e32 v10, 0x7c00, v10, vcc_lo
	v_cmp_eq_u32_e32 vcc_lo, 0x40f, v12
	s_wait_alu 0xfffd
	v_cndmask_b32_e32 v2, v2, v4, vcc_lo
	v_cmp_eq_u32_e32 vcc_lo, 0x40f, v11
	s_delay_alu instid0(VALU_DEP_2) | instskip(SKIP_3) | instid1(VALU_DEP_3)
	v_and_or_b32 v2, 0x8000, v5, v2
	s_wait_alu 0xfffd
	v_cndmask_b32_e32 v6, v10, v6, vcc_lo
	v_lshlrev_b64_e32 v[4:5], 2, v[8:9]
	v_and_b32_e32 v2, 0xffff, v2
	s_delay_alu instid0(VALU_DEP_3) | instskip(NEXT) | instid1(VALU_DEP_3)
	v_and_or_b32 v6, 0x8000, v7, v6
	v_add_co_u32 v4, vcc_lo, v0, v4
	s_wait_alu 0xfffd
	s_delay_alu instid0(VALU_DEP_4) | instskip(NEXT) | instid1(VALU_DEP_3)
	v_add_co_ci_u32_e32 v5, vcc_lo, v1, v5, vcc_lo
	v_lshl_or_b32 v2, v6, 16, v2
	global_store_b32 v[4:5], v2, off
	global_load_b32 v2, v31, s[8:9] offset:192
	v_lshrrev_b32_e32 v4, 16, v3
	s_wait_loadcnt 0x0
	v_lshrrev_b32_e32 v5, 16, v2
	s_delay_alu instid0(VALU_DEP_1) | instskip(SKIP_1) | instid1(VALU_DEP_2)
	v_mul_f16_e32 v6, v4, v5
	v_mul_f16_e32 v5, v3, v5
	v_fmac_f16_e32 v6, v3, v2
	s_delay_alu instid0(VALU_DEP_2) | instskip(NEXT) | instid1(VALU_DEP_2)
	v_fma_f16 v2, v2, v4, -v5
	v_cvt_f32_f16_e32 v3, v6
	s_delay_alu instid0(VALU_DEP_2) | instskip(NEXT) | instid1(VALU_DEP_2)
	v_cvt_f32_f16_e32 v4, v2
	v_cvt_f64_f32_e32 v[2:3], v3
	s_delay_alu instid0(VALU_DEP_2) | instskip(NEXT) | instid1(VALU_DEP_2)
	v_cvt_f64_f32_e32 v[4:5], v4
	v_mul_f64_e32 v[2:3], s[10:11], v[2:3]
	s_delay_alu instid0(VALU_DEP_2) | instskip(NEXT) | instid1(VALU_DEP_2)
	v_mul_f64_e32 v[4:5], s[10:11], v[4:5]
	v_and_or_b32 v2, 0x1ff, v3, v2
	s_delay_alu instid0(VALU_DEP_2)
	v_and_or_b32 v4, 0x1ff, v5, v4
	v_lshrrev_b32_e32 v6, 8, v3
	v_bfe_u32 v8, v3, 20, 11
	v_bfe_u32 v9, v5, 20, 11
	v_cmp_ne_u32_e32 vcc_lo, 0, v2
	v_lshrrev_b32_e32 v7, 8, v5
	v_lshrrev_b32_e32 v5, 16, v5
	v_sub_nc_u32_e32 v10, 0x3f1, v8
	v_sub_nc_u32_e32 v11, 0x3f1, v9
	s_wait_alu 0xfffd
	v_cndmask_b32_e64 v2, 0, 1, vcc_lo
	v_cmp_ne_u32_e32 vcc_lo, 0, v4
	v_add_nc_u32_e32 v9, 0xfffffc10, v9
	s_delay_alu instid0(VALU_DEP_3)
	v_and_or_b32 v12, 0xffe, v6, v2
	s_wait_alu 0xfffd
	v_cndmask_b32_e64 v4, 0, 1, vcc_lo
	v_med3_i32 v2, v10, 0, 13
	v_med3_i32 v10, v11, 0, 13
	v_or_b32_e32 v11, 0x1000, v12
	s_delay_alu instid0(VALU_DEP_4) | instskip(SKIP_1) | instid1(VALU_DEP_3)
	v_and_or_b32 v4, 0xffe, v7, v4
	v_mad_co_u64_u32 v[6:7], null, s4, v35, 0
	v_lshrrev_b32_e32 v15, v2, v11
	s_delay_alu instid0(VALU_DEP_3) | instskip(NEXT) | instid1(VALU_DEP_2)
	v_or_b32_e32 v13, 0x1000, v4
	v_lshlrev_b32_e32 v17, v2, v15
	s_delay_alu instid0(VALU_DEP_2) | instskip(SKIP_1) | instid1(VALU_DEP_3)
	v_lshrrev_b32_e32 v16, v10, v13
	v_mov_b32_e32 v2, v7
	v_cmp_ne_u32_e32 vcc_lo, v17, v11
	s_delay_alu instid0(VALU_DEP_3) | instskip(SKIP_3) | instid1(VALU_DEP_3)
	v_lshlrev_b32_e32 v7, v10, v16
	v_add_nc_u32_e32 v10, 0xfffffc10, v8
	s_wait_alu 0xfffd
	v_cndmask_b32_e64 v11, 0, 1, vcc_lo
	v_cmp_ne_u32_e32 vcc_lo, v7, v13
	v_mad_co_u64_u32 v[7:8], null, s5, v35, v[2:3]
	v_lshl_or_b32 v2, v10, 12, v12
	s_delay_alu instid0(VALU_DEP_4)
	v_or_b32_e32 v8, v15, v11
	s_wait_alu 0xfffd
	v_cndmask_b32_e64 v13, 0, 1, vcc_lo
	v_cmp_gt_i32_e32 vcc_lo, 1, v10
	v_lshl_or_b32 v11, v9, 12, v4
	v_lshrrev_b32_e32 v3, 16, v3
	s_delay_alu instid0(VALU_DEP_4)
	v_or_b32_e32 v13, v16, v13
	s_wait_alu 0xfffd
	v_cndmask_b32_e32 v2, v2, v8, vcc_lo
	v_cmp_gt_i32_e32 vcc_lo, 1, v9
	s_wait_alu 0xfffd
	v_cndmask_b32_e32 v8, v11, v13, vcc_lo
	v_cmp_ne_u32_e32 vcc_lo, 0, v12
	v_and_b32_e32 v12, 7, v2
	v_lshrrev_b32_e32 v2, 2, v2
	s_delay_alu instid0(VALU_DEP_4)
	v_and_b32_e32 v13, 7, v8
	s_wait_alu 0xfffd
	v_cndmask_b32_e64 v11, 0, 1, vcc_lo
	v_cmp_ne_u32_e32 vcc_lo, 0, v4
	v_cmp_eq_u32_e64 s0, 3, v12
	v_lshrrev_b32_e32 v8, 2, v8
	v_cmp_lt_i32_e64 s1, 5, v13
	v_cmp_eq_u32_e64 s2, 3, v13
	s_wait_alu 0xfffd
	v_cndmask_b32_e64 v4, 0, 1, vcc_lo
	v_cmp_lt_i32_e32 vcc_lo, 5, v12
	v_lshl_or_b32 v11, v11, 9, 0x7c00
	s_delay_alu instid0(VALU_DEP_3)
	v_lshl_or_b32 v4, v4, 9, 0x7c00
	s_or_b32 vcc_lo, s0, vcc_lo
	s_wait_alu 0xfffe
	v_add_co_ci_u32_e32 v2, vcc_lo, 0, v2, vcc_lo
	s_or_b32 vcc_lo, s2, s1
	s_wait_alu 0xfffe
	v_add_co_ci_u32_e32 v8, vcc_lo, 0, v8, vcc_lo
	v_cmp_gt_i32_e32 vcc_lo, 31, v10
	s_wait_alu 0xfffd
	v_cndmask_b32_e32 v2, 0x7c00, v2, vcc_lo
	v_cmp_gt_i32_e32 vcc_lo, 31, v9
	s_wait_alu 0xfffd
	v_cndmask_b32_e32 v8, 0x7c00, v8, vcc_lo
	v_cmp_eq_u32_e32 vcc_lo, 0x40f, v10
	s_wait_alu 0xfffd
	v_cndmask_b32_e32 v2, v2, v11, vcc_lo
	v_cmp_eq_u32_e32 vcc_lo, 0x40f, v9
	s_wait_alu 0xfffd
	v_cndmask_b32_e32 v4, v8, v4, vcc_lo
	s_delay_alu instid0(VALU_DEP_3) | instskip(SKIP_1) | instid1(VALU_DEP_3)
	v_and_or_b32 v8, 0x8000, v3, v2
	v_lshlrev_b64_e32 v[2:3], 2, v[6:7]
	v_and_or_b32 v4, 0x8000, v5, v4
	s_delay_alu instid0(VALU_DEP_3) | instskip(NEXT) | instid1(VALU_DEP_3)
	v_and_b32_e32 v5, 0xffff, v8
	v_add_co_u32 v2, vcc_lo, v0, v2
	s_wait_alu 0xfffd
	s_delay_alu instid0(VALU_DEP_4) | instskip(NEXT) | instid1(VALU_DEP_3)
	v_add_co_ci_u32_e32 v3, vcc_lo, v1, v3, vcc_lo
	v_lshl_or_b32 v4, v4, 16, v5
	global_store_b32 v[2:3], v4, off
	global_load_b32 v4, v31, s[8:9] offset:208
	ds_load_2addr_b32 v[2:3], v14 offset0:52 offset1:56
	s_wait_dscnt 0x0
	v_lshrrev_b32_e32 v5, 16, v2
	s_wait_loadcnt 0x0
	v_lshrrev_b32_e32 v6, 16, v4
	s_delay_alu instid0(VALU_DEP_1) | instskip(SKIP_1) | instid1(VALU_DEP_2)
	v_mul_f16_e32 v7, v5, v6
	v_mul_f16_e32 v6, v2, v6
	v_fmac_f16_e32 v7, v2, v4
	s_delay_alu instid0(VALU_DEP_2) | instskip(NEXT) | instid1(VALU_DEP_2)
	v_fma_f16 v2, v4, v5, -v6
	v_cvt_f32_f16_e32 v4, v7
	s_delay_alu instid0(VALU_DEP_2) | instskip(NEXT) | instid1(VALU_DEP_2)
	v_cvt_f32_f16_e32 v2, v2
	v_cvt_f64_f32_e32 v[4:5], v4
	s_delay_alu instid0(VALU_DEP_2) | instskip(NEXT) | instid1(VALU_DEP_2)
	v_cvt_f64_f32_e32 v[6:7], v2
	v_mul_f64_e32 v[4:5], s[10:11], v[4:5]
	s_delay_alu instid0(VALU_DEP_2) | instskip(NEXT) | instid1(VALU_DEP_2)
	v_mul_f64_e32 v[6:7], s[10:11], v[6:7]
	v_and_or_b32 v2, 0x1ff, v5, v4
	s_delay_alu instid0(VALU_DEP_2)
	v_and_or_b32 v6, 0x1ff, v7, v6
	v_lshrrev_b32_e32 v4, 8, v5
	v_bfe_u32 v10, v5, 20, 11
	v_lshrrev_b32_e32 v8, 8, v7
	v_cmp_ne_u32_e32 vcc_lo, 0, v2
	v_bfe_u32 v11, v7, 20, 11
	v_lshrrev_b32_e32 v5, 16, v5
	v_sub_nc_u32_e32 v9, 0x3f1, v10
	v_lshrrev_b32_e32 v7, 16, v7
	s_wait_alu 0xfffd
	v_cndmask_b32_e64 v2, 0, 1, vcc_lo
	v_cmp_ne_u32_e32 vcc_lo, 0, v6
	v_sub_nc_u32_e32 v12, 0x3f1, v11
	v_add_nc_u32_e32 v11, 0xfffffc10, v11
	s_delay_alu instid0(VALU_DEP_4)
	v_and_or_b32 v4, 0xffe, v4, v2
	s_wait_alu 0xfffd
	v_cndmask_b32_e64 v6, 0, 1, vcc_lo
	v_med3_i32 v2, v9, 0, 13
	v_med3_i32 v12, v12, 0, 13
	v_or_b32_e32 v13, 0x1000, v4
	s_delay_alu instid0(VALU_DEP_4) | instskip(SKIP_1) | instid1(VALU_DEP_3)
	v_and_or_b32 v6, 0xffe, v8, v6
	v_mad_co_u64_u32 v[8:9], null, s4, v34, 0
	v_lshrrev_b32_e32 v16, v2, v13
	s_delay_alu instid0(VALU_DEP_3) | instskip(NEXT) | instid1(VALU_DEP_2)
	v_or_b32_e32 v15, 0x1000, v6
	v_lshlrev_b32_e32 v18, v2, v16
	s_delay_alu instid0(VALU_DEP_2) | instskip(SKIP_1) | instid1(VALU_DEP_3)
	v_lshrrev_b32_e32 v17, v12, v15
	v_mov_b32_e32 v2, v9
	v_cmp_ne_u32_e32 vcc_lo, v18, v13
	s_delay_alu instid0(VALU_DEP_3) | instskip(SKIP_3) | instid1(VALU_DEP_3)
	v_lshlrev_b32_e32 v9, v12, v17
	v_add_nc_u32_e32 v12, 0xfffffc10, v10
	s_wait_alu 0xfffd
	v_cndmask_b32_e64 v13, 0, 1, vcc_lo
	v_cmp_ne_u32_e32 vcc_lo, v9, v15
	v_mad_co_u64_u32 v[9:10], null, s5, v34, v[2:3]
	v_lshl_or_b32 v2, v12, 12, v4
	s_delay_alu instid0(VALU_DEP_4) | instskip(SKIP_4) | instid1(VALU_DEP_3)
	v_or_b32_e32 v10, v16, v13
	s_wait_alu 0xfffd
	v_cndmask_b32_e64 v15, 0, 1, vcc_lo
	v_cmp_gt_i32_e32 vcc_lo, 1, v12
	v_lshl_or_b32 v13, v11, 12, v6
	v_or_b32_e32 v15, v17, v15
	s_wait_alu 0xfffd
	v_cndmask_b32_e32 v2, v2, v10, vcc_lo
	v_cmp_gt_i32_e32 vcc_lo, 1, v11
	s_wait_alu 0xfffd
	v_cndmask_b32_e32 v10, v13, v15, vcc_lo
	v_cmp_ne_u32_e32 vcc_lo, 0, v4
	v_and_b32_e32 v13, 7, v2
	v_lshrrev_b32_e32 v2, 2, v2
	s_delay_alu instid0(VALU_DEP_4)
	v_and_b32_e32 v15, 7, v10
	s_wait_alu 0xfffd
	v_cndmask_b32_e64 v4, 0, 1, vcc_lo
	v_cmp_ne_u32_e32 vcc_lo, 0, v6
	v_cmp_eq_u32_e64 s0, 3, v13
	v_lshrrev_b32_e32 v10, 2, v10
	v_cmp_lt_i32_e64 s1, 5, v15
	v_cmp_eq_u32_e64 s2, 3, v15
	s_wait_alu 0xfffd
	v_cndmask_b32_e64 v6, 0, 1, vcc_lo
	v_cmp_lt_i32_e32 vcc_lo, 5, v13
	v_lshl_or_b32 v4, v4, 9, 0x7c00
	s_delay_alu instid0(VALU_DEP_3)
	v_lshl_or_b32 v6, v6, 9, 0x7c00
	s_or_b32 vcc_lo, s0, vcc_lo
	s_wait_alu 0xfffe
	v_add_co_ci_u32_e32 v2, vcc_lo, 0, v2, vcc_lo
	s_or_b32 vcc_lo, s2, s1
	s_wait_alu 0xfffe
	v_add_co_ci_u32_e32 v10, vcc_lo, 0, v10, vcc_lo
	v_cmp_gt_i32_e32 vcc_lo, 31, v12
	s_wait_alu 0xfffd
	v_cndmask_b32_e32 v2, 0x7c00, v2, vcc_lo
	v_cmp_gt_i32_e32 vcc_lo, 31, v11
	s_wait_alu 0xfffd
	v_cndmask_b32_e32 v10, 0x7c00, v10, vcc_lo
	v_cmp_eq_u32_e32 vcc_lo, 0x40f, v12
	s_wait_alu 0xfffd
	v_cndmask_b32_e32 v2, v2, v4, vcc_lo
	v_cmp_eq_u32_e32 vcc_lo, 0x40f, v11
	s_delay_alu instid0(VALU_DEP_2) | instskip(SKIP_3) | instid1(VALU_DEP_3)
	v_and_or_b32 v2, 0x8000, v5, v2
	s_wait_alu 0xfffd
	v_cndmask_b32_e32 v6, v10, v6, vcc_lo
	v_lshlrev_b64_e32 v[4:5], 2, v[8:9]
	v_and_b32_e32 v2, 0xffff, v2
	s_delay_alu instid0(VALU_DEP_3) | instskip(NEXT) | instid1(VALU_DEP_3)
	v_and_or_b32 v6, 0x8000, v7, v6
	v_add_co_u32 v4, vcc_lo, v0, v4
	s_wait_alu 0xfffd
	s_delay_alu instid0(VALU_DEP_4) | instskip(NEXT) | instid1(VALU_DEP_3)
	v_add_co_ci_u32_e32 v5, vcc_lo, v1, v5, vcc_lo
	v_lshl_or_b32 v2, v6, 16, v2
	global_store_b32 v[4:5], v2, off
	global_load_b32 v2, v31, s[8:9] offset:224
	v_lshrrev_b32_e32 v4, 16, v3
	s_wait_loadcnt 0x0
	v_lshrrev_b32_e32 v5, 16, v2
	s_delay_alu instid0(VALU_DEP_1) | instskip(SKIP_1) | instid1(VALU_DEP_2)
	v_mul_f16_e32 v6, v4, v5
	v_mul_f16_e32 v5, v3, v5
	v_fmac_f16_e32 v6, v3, v2
	s_delay_alu instid0(VALU_DEP_2) | instskip(NEXT) | instid1(VALU_DEP_2)
	v_fma_f16 v2, v2, v4, -v5
	v_cvt_f32_f16_e32 v3, v6
	s_delay_alu instid0(VALU_DEP_2) | instskip(NEXT) | instid1(VALU_DEP_2)
	v_cvt_f32_f16_e32 v4, v2
	v_cvt_f64_f32_e32 v[2:3], v3
	s_delay_alu instid0(VALU_DEP_2) | instskip(NEXT) | instid1(VALU_DEP_2)
	v_cvt_f64_f32_e32 v[4:5], v4
	v_mul_f64_e32 v[2:3], s[10:11], v[2:3]
	s_delay_alu instid0(VALU_DEP_2) | instskip(NEXT) | instid1(VALU_DEP_2)
	v_mul_f64_e32 v[4:5], s[10:11], v[4:5]
	v_and_or_b32 v2, 0x1ff, v3, v2
	s_delay_alu instid0(VALU_DEP_2)
	v_and_or_b32 v4, 0x1ff, v5, v4
	v_lshrrev_b32_e32 v6, 8, v3
	v_bfe_u32 v8, v3, 20, 11
	v_bfe_u32 v9, v5, 20, 11
	v_cmp_ne_u32_e32 vcc_lo, 0, v2
	v_lshrrev_b32_e32 v7, 8, v5
	v_lshrrev_b32_e32 v5, 16, v5
	v_sub_nc_u32_e32 v10, 0x3f1, v8
	v_sub_nc_u32_e32 v11, 0x3f1, v9
	s_wait_alu 0xfffd
	v_cndmask_b32_e64 v2, 0, 1, vcc_lo
	v_cmp_ne_u32_e32 vcc_lo, 0, v4
	v_add_nc_u32_e32 v9, 0xfffffc10, v9
	s_delay_alu instid0(VALU_DEP_3)
	v_and_or_b32 v12, 0xffe, v6, v2
	s_wait_alu 0xfffd
	v_cndmask_b32_e64 v4, 0, 1, vcc_lo
	v_med3_i32 v2, v10, 0, 13
	v_med3_i32 v10, v11, 0, 13
	v_or_b32_e32 v11, 0x1000, v12
	s_delay_alu instid0(VALU_DEP_4) | instskip(SKIP_1) | instid1(VALU_DEP_3)
	v_and_or_b32 v4, 0xffe, v7, v4
	v_mad_co_u64_u32 v[6:7], null, s4, v33, 0
	v_lshrrev_b32_e32 v15, v2, v11
	s_delay_alu instid0(VALU_DEP_3) | instskip(NEXT) | instid1(VALU_DEP_2)
	v_or_b32_e32 v13, 0x1000, v4
	v_lshlrev_b32_e32 v17, v2, v15
	s_delay_alu instid0(VALU_DEP_2) | instskip(SKIP_1) | instid1(VALU_DEP_3)
	v_lshrrev_b32_e32 v16, v10, v13
	v_mov_b32_e32 v2, v7
	v_cmp_ne_u32_e32 vcc_lo, v17, v11
	s_delay_alu instid0(VALU_DEP_3) | instskip(SKIP_3) | instid1(VALU_DEP_3)
	v_lshlrev_b32_e32 v7, v10, v16
	v_add_nc_u32_e32 v10, 0xfffffc10, v8
	s_wait_alu 0xfffd
	v_cndmask_b32_e64 v11, 0, 1, vcc_lo
	v_cmp_ne_u32_e32 vcc_lo, v7, v13
	v_mad_co_u64_u32 v[7:8], null, s5, v33, v[2:3]
	v_lshl_or_b32 v2, v10, 12, v12
	s_delay_alu instid0(VALU_DEP_4)
	v_or_b32_e32 v8, v15, v11
	s_wait_alu 0xfffd
	v_cndmask_b32_e64 v13, 0, 1, vcc_lo
	v_cmp_gt_i32_e32 vcc_lo, 1, v10
	v_lshl_or_b32 v11, v9, 12, v4
	v_lshrrev_b32_e32 v3, 16, v3
	s_delay_alu instid0(VALU_DEP_4)
	v_or_b32_e32 v13, v16, v13
	s_wait_alu 0xfffd
	v_cndmask_b32_e32 v2, v2, v8, vcc_lo
	v_cmp_gt_i32_e32 vcc_lo, 1, v9
	s_wait_alu 0xfffd
	v_cndmask_b32_e32 v8, v11, v13, vcc_lo
	v_cmp_ne_u32_e32 vcc_lo, 0, v12
	v_and_b32_e32 v12, 7, v2
	v_lshrrev_b32_e32 v2, 2, v2
	s_delay_alu instid0(VALU_DEP_4)
	v_and_b32_e32 v13, 7, v8
	s_wait_alu 0xfffd
	v_cndmask_b32_e64 v11, 0, 1, vcc_lo
	v_cmp_ne_u32_e32 vcc_lo, 0, v4
	v_cmp_eq_u32_e64 s0, 3, v12
	v_lshrrev_b32_e32 v8, 2, v8
	v_cmp_lt_i32_e64 s1, 5, v13
	v_cmp_eq_u32_e64 s2, 3, v13
	s_wait_alu 0xfffd
	v_cndmask_b32_e64 v4, 0, 1, vcc_lo
	v_cmp_lt_i32_e32 vcc_lo, 5, v12
	v_lshl_or_b32 v11, v11, 9, 0x7c00
	s_delay_alu instid0(VALU_DEP_3)
	v_lshl_or_b32 v4, v4, 9, 0x7c00
	s_or_b32 vcc_lo, s0, vcc_lo
	s_wait_alu 0xfffe
	v_add_co_ci_u32_e32 v2, vcc_lo, 0, v2, vcc_lo
	s_or_b32 vcc_lo, s2, s1
	s_wait_alu 0xfffe
	v_add_co_ci_u32_e32 v8, vcc_lo, 0, v8, vcc_lo
	v_cmp_gt_i32_e32 vcc_lo, 31, v10
	s_wait_alu 0xfffd
	v_cndmask_b32_e32 v2, 0x7c00, v2, vcc_lo
	v_cmp_gt_i32_e32 vcc_lo, 31, v9
	s_wait_alu 0xfffd
	v_cndmask_b32_e32 v8, 0x7c00, v8, vcc_lo
	v_cmp_eq_u32_e32 vcc_lo, 0x40f, v10
	s_wait_alu 0xfffd
	v_cndmask_b32_e32 v2, v2, v11, vcc_lo
	v_cmp_eq_u32_e32 vcc_lo, 0x40f, v9
	s_wait_alu 0xfffd
	v_cndmask_b32_e32 v4, v8, v4, vcc_lo
	s_delay_alu instid0(VALU_DEP_3) | instskip(SKIP_1) | instid1(VALU_DEP_3)
	v_and_or_b32 v8, 0x8000, v3, v2
	v_lshlrev_b64_e32 v[2:3], 2, v[6:7]
	v_and_or_b32 v4, 0x8000, v5, v4
	s_delay_alu instid0(VALU_DEP_3) | instskip(NEXT) | instid1(VALU_DEP_3)
	v_and_b32_e32 v5, 0xffff, v8
	v_add_co_u32 v2, vcc_lo, v0, v2
	s_wait_alu 0xfffd
	s_delay_alu instid0(VALU_DEP_4) | instskip(NEXT) | instid1(VALU_DEP_3)
	v_add_co_ci_u32_e32 v3, vcc_lo, v1, v3, vcc_lo
	v_lshl_or_b32 v4, v4, 16, v5
	global_store_b32 v[2:3], v4, off
	global_load_b32 v4, v31, s[8:9] offset:240
	ds_load_2addr_b32 v[2:3], v14 offset0:60 offset1:64
	s_wait_dscnt 0x0
	v_lshrrev_b32_e32 v5, 16, v2
	s_wait_loadcnt 0x0
	v_lshrrev_b32_e32 v6, 16, v4
	s_delay_alu instid0(VALU_DEP_1) | instskip(SKIP_1) | instid1(VALU_DEP_2)
	v_mul_f16_e32 v7, v5, v6
	v_mul_f16_e32 v6, v2, v6
	v_fmac_f16_e32 v7, v2, v4
	s_delay_alu instid0(VALU_DEP_2) | instskip(NEXT) | instid1(VALU_DEP_2)
	v_fma_f16 v2, v4, v5, -v6
	v_cvt_f32_f16_e32 v4, v7
	s_delay_alu instid0(VALU_DEP_2) | instskip(NEXT) | instid1(VALU_DEP_2)
	v_cvt_f32_f16_e32 v2, v2
	v_cvt_f64_f32_e32 v[4:5], v4
	s_delay_alu instid0(VALU_DEP_2) | instskip(NEXT) | instid1(VALU_DEP_2)
	v_cvt_f64_f32_e32 v[6:7], v2
	v_mul_f64_e32 v[4:5], s[10:11], v[4:5]
	s_delay_alu instid0(VALU_DEP_2) | instskip(NEXT) | instid1(VALU_DEP_2)
	v_mul_f64_e32 v[6:7], s[10:11], v[6:7]
	v_and_or_b32 v2, 0x1ff, v5, v4
	s_delay_alu instid0(VALU_DEP_2)
	v_and_or_b32 v6, 0x1ff, v7, v6
	v_lshrrev_b32_e32 v4, 8, v5
	v_bfe_u32 v10, v5, 20, 11
	v_lshrrev_b32_e32 v8, 8, v7
	v_cmp_ne_u32_e32 vcc_lo, 0, v2
	v_bfe_u32 v11, v7, 20, 11
	v_lshrrev_b32_e32 v5, 16, v5
	v_sub_nc_u32_e32 v9, 0x3f1, v10
	v_lshrrev_b32_e32 v7, 16, v7
	s_wait_alu 0xfffd
	v_cndmask_b32_e64 v2, 0, 1, vcc_lo
	v_cmp_ne_u32_e32 vcc_lo, 0, v6
	v_sub_nc_u32_e32 v12, 0x3f1, v11
	v_add_nc_u32_e32 v11, 0xfffffc10, v11
	s_delay_alu instid0(VALU_DEP_4)
	v_and_or_b32 v4, 0xffe, v4, v2
	s_wait_alu 0xfffd
	v_cndmask_b32_e64 v6, 0, 1, vcc_lo
	v_med3_i32 v2, v9, 0, 13
	v_med3_i32 v12, v12, 0, 13
	v_or_b32_e32 v13, 0x1000, v4
	s_delay_alu instid0(VALU_DEP_4) | instskip(SKIP_1) | instid1(VALU_DEP_3)
	v_and_or_b32 v6, 0xffe, v8, v6
	v_mad_co_u64_u32 v[8:9], null, s4, v32, 0
	v_lshrrev_b32_e32 v15, v2, v13
	s_delay_alu instid0(VALU_DEP_3) | instskip(NEXT) | instid1(VALU_DEP_2)
	v_or_b32_e32 v14, 0x1000, v6
	v_lshlrev_b32_e32 v17, v2, v15
	s_delay_alu instid0(VALU_DEP_2) | instskip(SKIP_1) | instid1(VALU_DEP_3)
	v_lshrrev_b32_e32 v16, v12, v14
	v_mov_b32_e32 v2, v9
	v_cmp_ne_u32_e32 vcc_lo, v17, v13
	s_delay_alu instid0(VALU_DEP_3) | instskip(SKIP_3) | instid1(VALU_DEP_3)
	v_lshlrev_b32_e32 v9, v12, v16
	v_add_nc_u32_e32 v12, 0xfffffc10, v10
	s_wait_alu 0xfffd
	v_cndmask_b32_e64 v13, 0, 1, vcc_lo
	v_cmp_ne_u32_e32 vcc_lo, v9, v14
	v_mad_co_u64_u32 v[9:10], null, s5, v32, v[2:3]
	v_lshl_or_b32 v2, v12, 12, v4
	s_delay_alu instid0(VALU_DEP_4) | instskip(SKIP_4) | instid1(VALU_DEP_3)
	v_or_b32_e32 v10, v15, v13
	s_wait_alu 0xfffd
	v_cndmask_b32_e64 v14, 0, 1, vcc_lo
	v_cmp_gt_i32_e32 vcc_lo, 1, v12
	v_lshl_or_b32 v13, v11, 12, v6
	v_or_b32_e32 v14, v16, v14
	s_wait_alu 0xfffd
	v_cndmask_b32_e32 v2, v2, v10, vcc_lo
	v_cmp_gt_i32_e32 vcc_lo, 1, v11
	s_wait_alu 0xfffd
	v_cndmask_b32_e32 v10, v13, v14, vcc_lo
	v_cmp_ne_u32_e32 vcc_lo, 0, v4
	v_and_b32_e32 v13, 7, v2
	v_lshrrev_b32_e32 v2, 2, v2
	s_delay_alu instid0(VALU_DEP_4)
	v_and_b32_e32 v14, 7, v10
	s_wait_alu 0xfffd
	v_cndmask_b32_e64 v4, 0, 1, vcc_lo
	v_cmp_ne_u32_e32 vcc_lo, 0, v6
	v_cmp_eq_u32_e64 s0, 3, v13
	v_lshrrev_b32_e32 v10, 2, v10
	v_cmp_lt_i32_e64 s1, 5, v14
	v_cmp_eq_u32_e64 s2, 3, v14
	s_wait_alu 0xfffd
	v_cndmask_b32_e64 v6, 0, 1, vcc_lo
	v_cmp_lt_i32_e32 vcc_lo, 5, v13
	v_lshl_or_b32 v4, v4, 9, 0x7c00
	s_delay_alu instid0(VALU_DEP_3)
	v_lshl_or_b32 v6, v6, 9, 0x7c00
	s_or_b32 vcc_lo, s0, vcc_lo
	s_wait_alu 0xfffe
	v_add_co_ci_u32_e32 v2, vcc_lo, 0, v2, vcc_lo
	s_or_b32 vcc_lo, s2, s1
	s_wait_alu 0xfffe
	v_add_co_ci_u32_e32 v10, vcc_lo, 0, v10, vcc_lo
	v_cmp_gt_i32_e32 vcc_lo, 31, v12
	s_wait_alu 0xfffd
	v_cndmask_b32_e32 v2, 0x7c00, v2, vcc_lo
	v_cmp_gt_i32_e32 vcc_lo, 31, v11
	s_wait_alu 0xfffd
	v_cndmask_b32_e32 v10, 0x7c00, v10, vcc_lo
	v_cmp_eq_u32_e32 vcc_lo, 0x40f, v12
	s_wait_alu 0xfffd
	v_cndmask_b32_e32 v2, v2, v4, vcc_lo
	v_cmp_eq_u32_e32 vcc_lo, 0x40f, v11
	s_delay_alu instid0(VALU_DEP_2) | instskip(SKIP_3) | instid1(VALU_DEP_3)
	v_and_or_b32 v2, 0x8000, v5, v2
	s_wait_alu 0xfffd
	v_cndmask_b32_e32 v6, v10, v6, vcc_lo
	v_lshlrev_b64_e32 v[4:5], 2, v[8:9]
	v_and_b32_e32 v2, 0xffff, v2
	s_delay_alu instid0(VALU_DEP_3) | instskip(NEXT) | instid1(VALU_DEP_3)
	v_and_or_b32 v6, 0x8000, v7, v6
	v_add_co_u32 v4, vcc_lo, v0, v4
	s_wait_alu 0xfffd
	s_delay_alu instid0(VALU_DEP_4) | instskip(NEXT) | instid1(VALU_DEP_3)
	v_add_co_ci_u32_e32 v5, vcc_lo, v1, v5, vcc_lo
	v_lshl_or_b32 v2, v6, 16, v2
	global_store_b32 v[4:5], v2, off
	global_load_b32 v2, v31, s[8:9] offset:256
	v_lshrrev_b32_e32 v4, 16, v3
	s_wait_loadcnt 0x0
	v_lshrrev_b32_e32 v5, 16, v2
	s_delay_alu instid0(VALU_DEP_1) | instskip(SKIP_1) | instid1(VALU_DEP_2)
	v_mul_f16_e32 v6, v4, v5
	v_mul_f16_e32 v5, v3, v5
	v_fmac_f16_e32 v6, v3, v2
	s_delay_alu instid0(VALU_DEP_2) | instskip(NEXT) | instid1(VALU_DEP_2)
	v_fma_f16 v2, v2, v4, -v5
	v_cvt_f32_f16_e32 v3, v6
	s_delay_alu instid0(VALU_DEP_2) | instskip(NEXT) | instid1(VALU_DEP_2)
	v_cvt_f32_f16_e32 v4, v2
	v_cvt_f64_f32_e32 v[2:3], v3
	s_delay_alu instid0(VALU_DEP_2) | instskip(NEXT) | instid1(VALU_DEP_2)
	v_cvt_f64_f32_e32 v[4:5], v4
	v_mul_f64_e32 v[2:3], s[10:11], v[2:3]
	s_delay_alu instid0(VALU_DEP_2) | instskip(NEXT) | instid1(VALU_DEP_2)
	v_mul_f64_e32 v[4:5], s[10:11], v[4:5]
	v_and_or_b32 v2, 0x1ff, v3, v2
	s_delay_alu instid0(VALU_DEP_2)
	v_and_or_b32 v4, 0x1ff, v5, v4
	v_lshrrev_b32_e32 v6, 8, v3
	v_bfe_u32 v8, v3, 20, 11
	v_bfe_u32 v9, v5, 20, 11
	v_cmp_ne_u32_e32 vcc_lo, 0, v2
	v_lshrrev_b32_e32 v7, 8, v5
	v_lshrrev_b32_e32 v5, 16, v5
	v_sub_nc_u32_e32 v10, 0x3f1, v8
	v_sub_nc_u32_e32 v11, 0x3f1, v9
	s_wait_alu 0xfffd
	v_cndmask_b32_e64 v2, 0, 1, vcc_lo
	v_cmp_ne_u32_e32 vcc_lo, 0, v4
	v_add_nc_u32_e32 v9, 0xfffffc10, v9
	s_delay_alu instid0(VALU_DEP_3)
	v_and_or_b32 v12, 0xffe, v6, v2
	s_wait_alu 0xfffd
	v_cndmask_b32_e64 v4, 0, 1, vcc_lo
	v_med3_i32 v2, v10, 0, 13
	v_med3_i32 v10, v11, 0, 13
	v_or_b32_e32 v11, 0x1000, v12
	s_delay_alu instid0(VALU_DEP_4) | instskip(SKIP_1) | instid1(VALU_DEP_3)
	v_and_or_b32 v4, 0xffe, v7, v4
	v_mad_co_u64_u32 v[6:7], null, s4, v30, 0
	v_lshrrev_b32_e32 v14, v2, v11
	s_delay_alu instid0(VALU_DEP_3) | instskip(NEXT) | instid1(VALU_DEP_2)
	v_or_b32_e32 v13, 0x1000, v4
	v_lshlrev_b32_e32 v16, v2, v14
	s_delay_alu instid0(VALU_DEP_2) | instskip(SKIP_1) | instid1(VALU_DEP_3)
	v_lshrrev_b32_e32 v15, v10, v13
	v_mov_b32_e32 v2, v7
	v_cmp_ne_u32_e32 vcc_lo, v16, v11
	s_delay_alu instid0(VALU_DEP_3) | instskip(SKIP_3) | instid1(VALU_DEP_3)
	v_lshlrev_b32_e32 v7, v10, v15
	v_add_nc_u32_e32 v10, 0xfffffc10, v8
	s_wait_alu 0xfffd
	v_cndmask_b32_e64 v11, 0, 1, vcc_lo
	v_cmp_ne_u32_e32 vcc_lo, v7, v13
	v_mad_co_u64_u32 v[7:8], null, s5, v30, v[2:3]
	v_lshl_or_b32 v2, v10, 12, v12
	s_delay_alu instid0(VALU_DEP_4)
	v_or_b32_e32 v8, v14, v11
	s_wait_alu 0xfffd
	v_cndmask_b32_e64 v13, 0, 1, vcc_lo
	v_cmp_gt_i32_e32 vcc_lo, 1, v10
	v_lshl_or_b32 v11, v9, 12, v4
	v_lshrrev_b32_e32 v3, 16, v3
	s_delay_alu instid0(VALU_DEP_4)
	v_or_b32_e32 v13, v15, v13
	s_wait_alu 0xfffd
	v_cndmask_b32_e32 v2, v2, v8, vcc_lo
	v_cmp_gt_i32_e32 vcc_lo, 1, v9
	s_wait_alu 0xfffd
	v_cndmask_b32_e32 v8, v11, v13, vcc_lo
	v_cmp_ne_u32_e32 vcc_lo, 0, v12
	v_and_b32_e32 v12, 7, v2
	v_lshrrev_b32_e32 v2, 2, v2
	s_delay_alu instid0(VALU_DEP_4)
	v_and_b32_e32 v13, 7, v8
	s_wait_alu 0xfffd
	v_cndmask_b32_e64 v11, 0, 1, vcc_lo
	v_cmp_ne_u32_e32 vcc_lo, 0, v4
	v_cmp_eq_u32_e64 s0, 3, v12
	v_lshrrev_b32_e32 v8, 2, v8
	v_cmp_lt_i32_e64 s1, 5, v13
	v_cmp_eq_u32_e64 s2, 3, v13
	s_wait_alu 0xfffd
	v_cndmask_b32_e64 v4, 0, 1, vcc_lo
	v_cmp_lt_i32_e32 vcc_lo, 5, v12
	v_lshl_or_b32 v11, v11, 9, 0x7c00
	s_delay_alu instid0(VALU_DEP_3)
	v_lshl_or_b32 v4, v4, 9, 0x7c00
	s_or_b32 vcc_lo, s0, vcc_lo
	s_wait_alu 0xfffe
	v_add_co_ci_u32_e32 v2, vcc_lo, 0, v2, vcc_lo
	s_or_b32 vcc_lo, s2, s1
	s_wait_alu 0xfffe
	v_add_co_ci_u32_e32 v8, vcc_lo, 0, v8, vcc_lo
	v_cmp_gt_i32_e32 vcc_lo, 31, v10
	s_wait_alu 0xfffd
	v_cndmask_b32_e32 v2, 0x7c00, v2, vcc_lo
	v_cmp_gt_i32_e32 vcc_lo, 31, v9
	s_wait_alu 0xfffd
	v_cndmask_b32_e32 v8, 0x7c00, v8, vcc_lo
	v_cmp_eq_u32_e32 vcc_lo, 0x40f, v10
	s_wait_alu 0xfffd
	v_cndmask_b32_e32 v2, v2, v11, vcc_lo
	v_cmp_eq_u32_e32 vcc_lo, 0x40f, v9
	s_delay_alu instid0(VALU_DEP_2) | instskip(SKIP_2) | instid1(VALU_DEP_1)
	v_and_or_b32 v2, 0x8000, v3, v2
	s_wait_alu 0xfffd
	v_cndmask_b32_e32 v4, v8, v4, vcc_lo
	v_and_or_b32 v4, 0x8000, v5, v4
	s_delay_alu instid0(VALU_DEP_3) | instskip(SKIP_1) | instid1(VALU_DEP_2)
	v_and_b32_e32 v5, 0xffff, v2
	v_lshlrev_b64_e32 v[2:3], 2, v[6:7]
	v_lshl_or_b32 v4, v4, 16, v5
	s_delay_alu instid0(VALU_DEP_2) | instskip(SKIP_1) | instid1(VALU_DEP_3)
	v_add_co_u32 v0, vcc_lo, v0, v2
	s_wait_alu 0xfffd
	v_add_co_ci_u32_e32 v1, vcc_lo, v1, v3, vcc_lo
	global_store_b32 v[0:1], v4, off
.LBB0_15:
	s_nop 0
	s_sendmsg sendmsg(MSG_DEALLOC_VGPRS)
	s_endpgm
	.section	.rodata,"a",@progbits
	.p2align	6, 0x0
	.amdhsa_kernel bluestein_single_back_len68_dim1_half_op_CI_CI
		.amdhsa_group_segment_fixed_size 4080
		.amdhsa_private_segment_fixed_size 0
		.amdhsa_kernarg_size 104
		.amdhsa_user_sgpr_count 2
		.amdhsa_user_sgpr_dispatch_ptr 0
		.amdhsa_user_sgpr_queue_ptr 0
		.amdhsa_user_sgpr_kernarg_segment_ptr 1
		.amdhsa_user_sgpr_dispatch_id 0
		.amdhsa_user_sgpr_private_segment_size 0
		.amdhsa_wavefront_size32 1
		.amdhsa_uses_dynamic_stack 0
		.amdhsa_enable_private_segment 0
		.amdhsa_system_sgpr_workgroup_id_x 1
		.amdhsa_system_sgpr_workgroup_id_y 0
		.amdhsa_system_sgpr_workgroup_id_z 0
		.amdhsa_system_sgpr_workgroup_info 0
		.amdhsa_system_vgpr_workitem_id 0
		.amdhsa_next_free_vgpr 211
		.amdhsa_next_free_sgpr 14
		.amdhsa_reserve_vcc 1
		.amdhsa_float_round_mode_32 0
		.amdhsa_float_round_mode_16_64 0
		.amdhsa_float_denorm_mode_32 3
		.amdhsa_float_denorm_mode_16_64 3
		.amdhsa_fp16_overflow 0
		.amdhsa_workgroup_processor_mode 1
		.amdhsa_memory_ordered 1
		.amdhsa_forward_progress 0
		.amdhsa_round_robin_scheduling 0
		.amdhsa_exception_fp_ieee_invalid_op 0
		.amdhsa_exception_fp_denorm_src 0
		.amdhsa_exception_fp_ieee_div_zero 0
		.amdhsa_exception_fp_ieee_overflow 0
		.amdhsa_exception_fp_ieee_underflow 0
		.amdhsa_exception_fp_ieee_inexact 0
		.amdhsa_exception_int_div_zero 0
	.end_amdhsa_kernel
	.text
.Lfunc_end0:
	.size	bluestein_single_back_len68_dim1_half_op_CI_CI, .Lfunc_end0-bluestein_single_back_len68_dim1_half_op_CI_CI
                                        ; -- End function
	.section	.AMDGPU.csdata,"",@progbits
; Kernel info:
; codeLenInByte = 29112
; NumSgprs: 16
; NumVgprs: 211
; ScratchSize: 0
; MemoryBound: 0
; FloatMode: 240
; IeeeMode: 1
; LDSByteSize: 4080 bytes/workgroup (compile time only)
; SGPRBlocks: 1
; VGPRBlocks: 26
; NumSGPRsForWavesPerEU: 16
; NumVGPRsForWavesPerEU: 211
; Occupancy: 7
; WaveLimiterHint : 1
; COMPUTE_PGM_RSRC2:SCRATCH_EN: 0
; COMPUTE_PGM_RSRC2:USER_SGPR: 2
; COMPUTE_PGM_RSRC2:TRAP_HANDLER: 0
; COMPUTE_PGM_RSRC2:TGID_X_EN: 1
; COMPUTE_PGM_RSRC2:TGID_Y_EN: 0
; COMPUTE_PGM_RSRC2:TGID_Z_EN: 0
; COMPUTE_PGM_RSRC2:TIDIG_COMP_CNT: 0
	.text
	.p2alignl 7, 3214868480
	.fill 96, 4, 3214868480
	.type	__hip_cuid_438540c1dc45c8e5,@object ; @__hip_cuid_438540c1dc45c8e5
	.section	.bss,"aw",@nobits
	.globl	__hip_cuid_438540c1dc45c8e5
__hip_cuid_438540c1dc45c8e5:
	.byte	0                               ; 0x0
	.size	__hip_cuid_438540c1dc45c8e5, 1

	.ident	"AMD clang version 19.0.0git (https://github.com/RadeonOpenCompute/llvm-project roc-6.4.0 25133 c7fe45cf4b819c5991fe208aaa96edf142730f1d)"
	.section	".note.GNU-stack","",@progbits
	.addrsig
	.addrsig_sym __hip_cuid_438540c1dc45c8e5
	.amdgpu_metadata
---
amdhsa.kernels:
  - .args:
      - .actual_access:  read_only
        .address_space:  global
        .offset:         0
        .size:           8
        .value_kind:     global_buffer
      - .actual_access:  read_only
        .address_space:  global
        .offset:         8
        .size:           8
        .value_kind:     global_buffer
      - .actual_access:  read_only
        .address_space:  global
        .offset:         16
        .size:           8
        .value_kind:     global_buffer
      - .actual_access:  read_only
        .address_space:  global
        .offset:         24
        .size:           8
        .value_kind:     global_buffer
      - .actual_access:  read_only
        .address_space:  global
        .offset:         32
        .size:           8
        .value_kind:     global_buffer
      - .offset:         40
        .size:           8
        .value_kind:     by_value
      - .address_space:  global
        .offset:         48
        .size:           8
        .value_kind:     global_buffer
      - .address_space:  global
        .offset:         56
        .size:           8
        .value_kind:     global_buffer
      - .address_space:  global
        .offset:         64
        .size:           8
        .value_kind:     global_buffer
      - .address_space:  global
        .offset:         72
        .size:           8
        .value_kind:     global_buffer
      - .offset:         80
        .size:           4
        .value_kind:     by_value
      - .address_space:  global
        .offset:         88
        .size:           8
        .value_kind:     global_buffer
      - .address_space:  global
        .offset:         96
        .size:           8
        .value_kind:     global_buffer
    .group_segment_fixed_size: 4080
    .kernarg_segment_align: 8
    .kernarg_segment_size: 104
    .language:       OpenCL C
    .language_version:
      - 2
      - 0
    .max_flat_workgroup_size: 255
    .name:           bluestein_single_back_len68_dim1_half_op_CI_CI
    .private_segment_fixed_size: 0
    .sgpr_count:     16
    .sgpr_spill_count: 0
    .symbol:         bluestein_single_back_len68_dim1_half_op_CI_CI.kd
    .uniform_work_group_size: 1
    .uses_dynamic_stack: false
    .vgpr_count:     211
    .vgpr_spill_count: 0
    .wavefront_size: 32
    .workgroup_processor_mode: 1
amdhsa.target:   amdgcn-amd-amdhsa--gfx1201
amdhsa.version:
  - 1
  - 2
...

	.end_amdgpu_metadata
